;; amdgpu-corpus repo=ROCm/hip-tests kind=compiled arch=gfx1030 opt=O3
	.amdgcn_target "amdgcn-amd-amdhsa--gfx1030"
	.amdhsa_code_object_version 6
	.section	.text._Z6kernelIfEvPSt7complexIT_ES3_S3_8CalcKind,"axG",@progbits,_Z6kernelIfEvPSt7complexIT_ES3_S3_8CalcKind,comdat
	.protected	_Z6kernelIfEvPSt7complexIT_ES3_S3_8CalcKind ; -- Begin function _Z6kernelIfEvPSt7complexIT_ES3_S3_8CalcKind
	.globl	_Z6kernelIfEvPSt7complexIT_ES3_S3_8CalcKind
	.p2align	8
	.type	_Z6kernelIfEvPSt7complexIT_ES3_S3_8CalcKind,@function
_Z6kernelIfEvPSt7complexIT_ES3_S3_8CalcKind: ; @_Z6kernelIfEvPSt7complexIT_ES3_S3_8CalcKind
; %bb.0:
	s_clause 0x1
	s_load_dword s7, s[4:5], 0x2c
	s_load_dwordx4 s[0:3], s[4:5], 0x0
	s_waitcnt lgkmcnt(0)
	s_and_b32 s7, s7, 0xffff
	v_mad_u64_u32 v[0:1], null, s6, s7, v[0:1]
	s_clause 0x1
	s_load_dwordx2 s[6:7], s[4:5], 0x10
	s_load_dword s4, s[4:5], 0x18
	v_ashrrev_i32_e32 v1, 31, v0
	v_lshlrev_b64 v[0:1], 3, v[0:1]
	v_add_co_u32 v2, vcc_lo, s0, v0
	v_add_co_ci_u32_e64 v3, null, s1, v1, vcc_lo
	s_waitcnt lgkmcnt(0)
	s_cmp_lt_i32 s4, 4
	global_load_dwordx2 v[2:3], v[2:3], off
	s_cbranch_scc1 .LBB0_6
; %bb.1:
	s_cmp_lt_i32 s4, 6
	s_cbranch_scc1 .LBB0_7
; %bb.2:
	s_cmp_lt_i32 s4, 7
	s_cbranch_scc1 .LBB0_9
; %bb.3:
	s_waitcnt vmcnt(0)
	v_mov_b32_e32 v5, v3
	v_mov_b32_e32 v4, v2
	s_cmp_eq_u32 s4, 7
	s_cbranch_scc0 .LBB0_10
; %bb.4:
	v_and_b32_e32 v4, 0x7fffffff, v2
	v_cmp_ngt_f32_e64 s5, 0x48000000, |v2|
                                        ; implicit-def: $vgpr6
                                        ; implicit-def: $vgpr5
	v_lshrrev_b32_e32 v9, 23, v4
	s_and_saveexec_b32 s0, s5
	s_xor_b32 s8, exec_lo, s0
	s_cbranch_execz .LBB0_11
; %bb.5:
	s_mov_b32 s0, 0x7fffff
	v_mov_b32_e32 v7, 0
	v_and_or_b32 v8, v4, s0, 0x800000
	v_add_nc_u32_e32 v15, 0xffffff88, v9
	v_mad_u64_u32 v[5:6], null, 0xfe5163ab, v8, 0
	v_cmp_lt_u32_e32 vcc_lo, 63, v15
	v_cndmask_b32_e64 v16, 0, 0xffffffc0, vcc_lo
	v_mad_u64_u32 v[10:11], null, 0x3c439041, v8, v[6:7]
	v_add_nc_u32_e32 v16, v16, v15
	v_mov_b32_e32 v6, v11
	v_cmp_lt_u32_e64 s0, 31, v16
	v_mad_u64_u32 v[11:12], null, 0xdb629599, v8, v[6:7]
	v_cndmask_b32_e64 v17, 0, 0xffffffe0, s0
	v_mov_b32_e32 v6, v12
	v_cndmask_b32_e32 v5, v11, v5, vcc_lo
	v_mad_u64_u32 v[12:13], null, 0xf534ddc0, v8, v[6:7]
	v_mov_b32_e32 v6, v13
	v_cndmask_b32_e32 v10, v12, v10, vcc_lo
	v_mad_u64_u32 v[13:14], null, 0xfc2757d1, v8, v[6:7]
	v_cndmask_b32_e64 v5, v10, v5, s0
	v_mov_b32_e32 v6, v14
	v_mad_u64_u32 v[14:15], null, 0x4e441529, v8, v[6:7]
	v_mov_b32_e32 v6, v15
	v_add_nc_u32_e32 v15, v17, v16
	v_cndmask_b32_e32 v16, v14, v12, vcc_lo
	v_mad_u64_u32 v[6:7], null, 0xa2f9836e, v8, v[6:7]
	v_cmp_lt_u32_e64 s1, 31, v15
	v_cndmask_b32_e64 v8, 0, 0xffffffe0, s1
	v_cndmask_b32_e32 v6, v6, v13, vcc_lo
	v_cndmask_b32_e32 v7, v7, v14, vcc_lo
	;; [unrolled: 1-line block ×3, first 2 shown]
	v_add_nc_u32_e32 v8, v8, v15
	v_cndmask_b32_e64 v12, v6, v16, s0
	v_cndmask_b32_e64 v6, v7, v6, s0
	;; [unrolled: 1-line block ×4, first 2 shown]
	v_sub_nc_u32_e32 v14, 32, v8
	v_cmp_eq_u32_e32 vcc_lo, 0, v8
	v_cndmask_b32_e64 v6, v6, v12, s1
	v_cndmask_b32_e64 v12, v12, v7, s1
	;; [unrolled: 1-line block ×4, first 2 shown]
	v_alignbit_b32 v15, v6, v12, v14
	v_alignbit_b32 v11, v12, v7, v14
	;; [unrolled: 1-line block ×3, first 2 shown]
	v_cndmask_b32_e32 v6, v15, v6, vcc_lo
	v_cndmask_b32_e32 v8, v11, v12, vcc_lo
	;; [unrolled: 1-line block ×3, first 2 shown]
	v_bfe_u32 v10, v6, 29, 1
	v_alignbit_b32 v11, v6, v8, 30
	v_alignbit_b32 v8, v8, v7, 30
	;; [unrolled: 1-line block ×3, first 2 shown]
	v_sub_nc_u32_e32 v12, 0, v10
	v_xor_b32_e32 v11, v11, v12
	v_xor_b32_e32 v7, v8, v12
	;; [unrolled: 1-line block ×3, first 2 shown]
	v_lshrrev_b32_e32 v12, 29, v6
	v_lshrrev_b32_e32 v6, 30, v6
	v_ffbh_u32_e32 v13, v11
	v_add_nc_u32_e32 v6, v10, v6
	v_min_u32_e32 v13, 32, v13
	v_sub_nc_u32_e32 v8, 31, v13
	v_lshlrev_b32_e32 v14, 23, v13
	v_alignbit_b32 v11, v11, v7, v8
	v_alignbit_b32 v5, v7, v5, v8
	v_lshlrev_b32_e32 v7, 31, v12
	v_alignbit_b32 v8, v11, v5, 9
	v_or_b32_e32 v12, 0.5, v7
	v_lshrrev_b32_e32 v11, 9, v11
	v_or_b32_e32 v7, 0x33000000, v7
	v_ffbh_u32_e32 v15, v8
	v_sub_nc_u32_e32 v12, v12, v14
	v_min_u32_e32 v14, 32, v15
	v_or_b32_e32 v11, v11, v12
	v_not_b32_e32 v12, v14
	v_mul_f32_e32 v15, 0x3fc90fda, v11
	v_add_lshl_u32 v13, v14, v13, 23
	v_alignbit_b32 v5, v8, v5, v12
	v_fma_f32 v8, 0x3fc90fda, v11, -v15
	v_sub_nc_u32_e32 v7, v7, v13
	v_lshrrev_b32_e32 v5, 9, v5
	v_fmamk_f32 v8, v11, 0x33a22168, v8
	v_or_b32_e32 v5, v7, v5
	v_fmac_f32_e32 v8, 0x3fc90fda, v5
	v_add_f32_e32 v5, v15, v8
	s_andn2_saveexec_b32 s0, s8
	s_branch .LBB0_12
.LBB0_6:
                                        ; implicit-def: $vgpr5
	s_branch .LBB0_35
.LBB0_7:
                                        ; implicit-def: $vgpr5
	s_branch .LBB0_28
.LBB0_8:
	s_cbranch_execnz .LBB0_59
	s_branch .LBB0_35
.LBB0_9:
                                        ; implicit-def: $vgpr5
	s_branch .LBB0_18
.LBB0_10:
	s_cbranch_execnz .LBB0_27
	s_branch .LBB0_18
.LBB0_11:
	s_andn2_saveexec_b32 s0, s8
.LBB0_12:
	v_mul_f32_e64 v5, 0x3f22f983, |v2|
	v_rndne_f32_e32 v6, v5
	v_fma_f32 v5, 0xbfc90fda, v6, |v2|
	v_fmamk_f32 v5, v6, 0xb3a22168, v5
	v_fmamk_f32 v5, v6, 0xa7c234c4, v5
	v_cvt_i32_f32_e32 v6, v6
; %bb.13:
	s_or_b32 exec_lo, exec_lo, s0
                                        ; implicit-def: $vgpr8
                                        ; implicit-def: $vgpr7
	s_and_saveexec_b32 s0, s5
	s_xor_b32 s5, exec_lo, s0
	s_cbranch_execz .LBB0_15
; %bb.14:
	s_mov_b32 s0, 0x7fffff
	v_mov_b32_e32 v11, 0
	v_and_or_b32 v16, v4, s0, 0x800000
	v_mad_u64_u32 v[7:8], null, 0xfe5163ab, v16, 0
	v_mov_b32_e32 v10, v8
	v_mad_u64_u32 v[12:13], null, 0x3c439041, v16, v[10:11]
	v_mov_b32_e32 v10, v13
	;; [unrolled: 2-line block ×4, first 2 shown]
	v_add_nc_u32_e32 v15, 0xffffff88, v9
	v_mad_u64_u32 v[8:9], null, 0xfc2757d1, v16, v[10:11]
	v_cmp_lt_u32_e32 vcc_lo, 63, v15
	v_cndmask_b32_e64 v17, 0, 0xffffffc0, vcc_lo
	v_mov_b32_e32 v10, v9
	v_cndmask_b32_e32 v12, v14, v12, vcc_lo
	v_cndmask_b32_e32 v7, v13, v7, vcc_lo
	v_add_nc_u32_e32 v15, v17, v15
	v_mad_u64_u32 v[9:10], null, 0x4e441529, v16, v[10:11]
	v_cmp_lt_u32_e64 s0, 31, v15
	v_mad_u64_u32 v[10:11], null, 0xa2f9836e, v16, v[10:11]
	v_cndmask_b32_e64 v17, 0, 0xffffffe0, s0
	v_cndmask_b32_e64 v7, v12, v7, s0
	v_add_nc_u32_e32 v15, v17, v15
	v_cndmask_b32_e32 v17, v9, v14, vcc_lo
	v_cndmask_b32_e32 v10, v10, v8, vcc_lo
	v_cndmask_b32_e32 v9, v11, v9, vcc_lo
	v_cndmask_b32_e32 v8, v8, v13, vcc_lo
	v_cmp_lt_u32_e64 s1, 31, v15
	v_cndmask_b32_e64 v14, v10, v17, s0
	v_cndmask_b32_e64 v9, v9, v10, s0
	;; [unrolled: 1-line block ×7, first 2 shown]
	v_add_nc_u32_e32 v11, v16, v15
	v_cndmask_b32_e64 v10, v10, v8, s1
	v_cndmask_b32_e64 v7, v8, v7, s1
	v_sub_nc_u32_e32 v15, 32, v11
	v_cmp_eq_u32_e32 vcc_lo, 0, v11
	v_alignbit_b32 v16, v9, v14, v15
	v_alignbit_b32 v13, v14, v10, v15
	v_cndmask_b32_e32 v9, v16, v9, vcc_lo
	v_cndmask_b32_e32 v11, v13, v14, vcc_lo
	v_alignbit_b32 v14, v10, v7, v15
	v_bfe_u32 v12, v9, 29, 1
	v_alignbit_b32 v8, v9, v11, 30
	v_cndmask_b32_e32 v10, v14, v10, vcc_lo
	v_sub_nc_u32_e32 v13, 0, v12
	v_alignbit_b32 v11, v11, v10, 30
	v_alignbit_b32 v7, v10, v7, 30
	v_xor_b32_e32 v8, v8, v13
	v_xor_b32_e32 v10, v11, v13
	;; [unrolled: 1-line block ×3, first 2 shown]
	v_lshrrev_b32_e32 v13, 29, v9
	v_ffbh_u32_e32 v14, v8
	v_lshrrev_b32_e32 v9, 30, v9
	v_min_u32_e32 v14, 32, v14
	v_sub_nc_u32_e32 v11, 31, v14
	v_lshlrev_b32_e32 v15, 23, v14
	v_alignbit_b32 v8, v8, v10, v11
	v_alignbit_b32 v7, v10, v7, v11
	v_lshlrev_b32_e32 v10, 31, v13
	v_alignbit_b32 v11, v8, v7, 9
	v_or_b32_e32 v13, 0.5, v10
	v_lshrrev_b32_e32 v8, 9, v8
	v_or_b32_e32 v10, 0x33000000, v10
	v_ffbh_u32_e32 v16, v11
	v_sub_nc_u32_e32 v13, v13, v15
	v_min_u32_e32 v15, 32, v16
	v_or_b32_e32 v8, v8, v13
	v_not_b32_e32 v13, v15
	v_mul_f32_e32 v16, 0x3fc90fda, v8
	v_add_lshl_u32 v14, v15, v14, 23
	v_alignbit_b32 v7, v11, v7, v13
	v_fma_f32 v11, 0x3fc90fda, v8, -v16
	v_sub_nc_u32_e32 v10, v10, v14
	v_lshrrev_b32_e32 v7, 9, v7
	v_fmamk_f32 v8, v8, 0x33a22168, v11
	v_or_b32_e32 v7, v10, v7
	v_fmac_f32_e32 v8, 0x3fc90fda, v7
	v_add_f32_e32 v7, v16, v8
	v_add_nc_u32_e32 v8, v12, v9
	s_andn2_saveexec_b32 s0, s5
	s_cbranch_execnz .LBB0_16
	s_branch .LBB0_17
.LBB0_15:
	s_andn2_saveexec_b32 s0, s5
.LBB0_16:
	v_mul_f32_e64 v7, 0x3f22f983, |v2|
	v_rndne_f32_e32 v8, v7
	v_fma_f32 v7, 0xbfc90fda, v8, |v2|
	v_fmamk_f32 v7, v8, 0xb3a22168, v7
	v_fmamk_f32 v7, v8, 0xa7c234c4, v7
	v_cvt_i32_f32_e32 v8, v8
.LBB0_17:
	s_or_b32 exec_lo, exec_lo, s0
	v_add_f32_e64 v9, 0xbf317218, |v3|
	s_mov_b32 s0, 0x3ab42872
	s_mov_b32 s1, 0xb94c1982
	v_sub_f32_e64 v10, v9, |v3|
	v_sub_f32_e32 v11, v10, v9
	v_add_f32_e32 v10, 0x3f317218, v10
	v_add_f32_e64 v11, |v3|, v11
	v_sub_f32_e32 v10, v11, v10
	v_add_f32_e32 v10, 0x3102e308, v10
	v_add_f32_e32 v11, v9, v10
	v_mul_f32_e32 v12, 0x3fb8aa3b, v11
	v_sub_f32_e32 v9, v9, v11
	v_rndne_f32_e32 v12, v12
	v_add_f32_e32 v9, v10, v9
	v_fmamk_f32 v10, v12, 0xbf317200, v11
	v_mul_f32_e32 v11, 0x35bfbc00, v12
	v_add_f32_e32 v13, v9, v10
	v_sub_f32_e32 v14, v13, v11
	v_sub_f32_e32 v10, v10, v13
	;; [unrolled: 1-line block ×3, first 2 shown]
	v_add_f32_e32 v9, v9, v10
	v_sub_f32_e32 v10, v13, v11
	v_add_f32_e32 v9, v9, v10
	v_mul_f32_e32 v10, 0x2ea39ef3, v12
	v_add_f32_e32 v11, v14, v9
	v_sub_f32_e32 v13, v11, v10
	v_sub_f32_e32 v14, v14, v11
	;; [unrolled: 1-line block ×3, first 2 shown]
	v_add_f32_e32 v9, v9, v14
	v_sub_f32_e32 v10, v11, v10
	v_add_f32_e32 v9, v9, v10
	v_add_f32_e32 v10, v13, v9
	v_sub_f32_e32 v11, v13, v10
	v_mul_f32_e32 v13, v10, v10
	v_add_f32_e32 v9, v9, v11
	v_fmaak_f32 v11, s0, v10, 0x3c091de6
	v_fma_f32 v14, v10, v10, -v13
	s_mov_b32 s0, 0x37d75334
	v_add_f32_e32 v15, v9, v9
	v_fmaak_f32 v11, v10, v11, 0x3d2aadcc
	v_fmac_f32_e32 v14, v10, v15
	v_fmaak_f32 v11, v10, v11, 0x3e2aaa47
	v_add_f32_e32 v15, v13, v14
	v_fmaak_f32 v11, v10, v11, 0x3efffffc
	v_sub_f32_e32 v13, v15, v13
	v_mul_f32_e32 v16, v11, v15
	v_sub_f32_e32 v13, v14, v13
	v_fma_f32 v14, v15, v11, -v16
	v_fmac_f32_e32 v14, v13, v11
	v_add_f32_e32 v11, v16, v14
	v_sub_f32_e32 v13, v11, v16
	v_add_f32_e32 v15, v10, v11
	v_sub_f32_e32 v13, v14, v13
	v_sub_f32_e32 v10, v15, v10
	v_add_f32_e32 v9, v9, v13
	v_sub_f32_e32 v10, v11, v10
	v_add_f32_e32 v9, v9, v10
	v_add_f32_e32 v10, v15, v9
	v_add_f32_e32 v11, 1.0, v10
	v_sub_f32_e32 v13, v10, v15
	v_add_f32_e32 v14, -1.0, v11
	v_sub_f32_e32 v9, v9, v13
	v_sub_f32_e32 v10, v10, v14
	v_add_f32_e32 v9, v9, v10
	v_cvt_i32_f32_e32 v10, v12
	v_add_f32_e32 v12, v11, v9
	v_ldexp_f32 v13, v12, v10
	v_sub_f32_e32 v11, v12, v11
	v_rcp_f32_e32 v14, v13
	v_sub_f32_e32 v9, v9, v11
	v_ldexp_f32 v9, v9, v10
	v_mul_f32_e32 v11, v13, v14
	v_fma_f32 v10, v14, v13, -v11
	v_fmac_f32_e32 v10, v14, v9
	v_add_f32_e32 v12, v11, v10
	v_sub_f32_e32 v15, 1.0, v12
	v_sub_f32_e32 v11, v12, v11
	v_sub_f32_e32 v16, 1.0, v15
	v_sub_f32_e32 v10, v11, v10
	v_sub_f32_e32 v11, v16, v12
	v_add_f32_e32 v10, v10, v11
	v_add_f32_e32 v11, v15, v10
	v_mul_f32_e32 v12, v14, v11
	v_sub_f32_e32 v15, v15, v11
	v_mul_f32_e32 v16, v13, v12
	v_add_f32_e32 v10, v10, v15
	v_fma_f32 v17, v12, v13, -v16
	v_fmac_f32_e32 v17, v12, v9
	v_add_f32_e32 v18, v16, v17
	v_sub_f32_e32 v19, v11, v18
	v_sub_f32_e32 v15, v18, v16
	v_lshlrev_b32_e32 v16, 30, v8
	v_and_b32_e32 v8, 1, v8
	v_sub_f32_e32 v11, v11, v19
	v_sub_f32_e32 v15, v15, v17
	;; [unrolled: 1-line block ×3, first 2 shown]
	v_add_f32_e32 v10, v10, v11
	v_add_f32_e32 v11, v14, v12
	;; [unrolled: 1-line block ×3, first 2 shown]
	v_sub_f32_e32 v15, v11, v14
	v_add_f32_e32 v10, v19, v10
	v_sub_f32_e32 v12, v12, v15
	v_mul_f32_e32 v15, v5, v5
	v_mul_f32_e32 v10, v14, v10
	v_lshlrev_b32_e32 v14, 30, v6
	v_fmaak_f32 v18, s0, v15, 0xbab64f3b
	v_fmaak_f32 v19, s1, v15, 0x3c0881c4
	v_and_b32_e32 v6, 1, v6
	v_add_f32_e32 v10, v12, v10
	v_mul_f32_e32 v12, v7, v7
	v_fmaak_f32 v18, v15, v18, 0x3d2aabf7
	v_fmaak_f32 v19, v15, v19, 0xbe2aaa9d
	v_cmp_eq_u32_e32 vcc_lo, 0, v6
	v_add_f32_e32 v17, v11, v10
	v_fmaak_f32 v20, s1, v12, 0x3c0881c4
	v_fmaak_f32 v21, s0, v12, 0xbab64f3b
	;; [unrolled: 1-line block ×3, first 2 shown]
	v_mul_f32_e32 v19, v15, v19
	v_sub_f32_e32 v11, v17, v11
	v_ldexp_f32 v17, v17, -2
	v_fmaak_f32 v20, v12, v20, 0xbe2aaa9d
	v_fmaak_f32 v21, v12, v21, 0x3d2aabf7
	v_fma_f32 v15, v15, v18, 1.0
	v_sub_f32_e32 v10, v10, v11
	v_add_f32_e32 v11, v13, v17
	v_sub_f32_e32 v22, v13, v17
	v_mul_f32_e32 v20, v12, v20
	v_fmac_f32_e32 v5, v5, v19
	v_ldexp_f32 v10, v10, -2
	v_sub_f32_e32 v23, v11, v13
	v_sub_f32_e32 v13, v13, v22
	v_fmac_f32_e32 v7, v7, v20
	v_cndmask_b32_e64 v5, -v5, v15, vcc_lo
	v_add_f32_e32 v24, v9, v10
	v_sub_f32_e32 v23, v17, v23
	v_sub_f32_e32 v13, v13, v17
	v_fmaak_f32 v17, v12, v21, 0xbf000004
	v_cmp_lt_f32_e64 s0, 0x42b2d4fc, |v3|
	v_cmp_eq_u32_e32 vcc_lo, 0, v8
	v_add_f32_e32 v18, v24, v23
	v_add_f32_e32 v9, v9, v13
	v_and_b32_e32 v14, 0x80000000, v14
	v_add_f32_e32 v6, v11, v18
	v_sub_f32_e32 v9, v9, v10
	v_fma_f32 v10, v12, v17, 1.0
	v_and_b32_e32 v11, 0x80000000, v16
	v_xor_b32_e32 v5, v14, v5
	v_cndmask_b32_e64 v6, v6, 0x7f800000, s0
	v_add_f32_e32 v9, v22, v9
	v_cndmask_b32_e32 v7, v10, v7, vcc_lo
	v_xor_b32_e32 v4, v4, v11
	v_cmp_class_f32_e64 vcc_lo, v2, 0x1f8
	v_cndmask_b32_e64 v8, v9, 0x7f800000, s0
	v_cmp_gt_f32_e64 s0, 0x39800000, |v3|
	v_xor3_b32 v4, v4, v7, v2
	v_cndmask_b32_e32 v5, 0x7fc00000, v5, vcc_lo
	v_cndmask_b32_e64 v7, v8, |v3|, s0
	v_cndmask_b32_e64 v8, 0xffc00000, -v4, vcc_lo
	v_mul_f32_e32 v4, v6, v5
	v_bfi_b32 v7, 0x7fffffff, v7, v3
	v_mul_f32_e32 v5, v7, v8
	s_cbranch_execnz .LBB0_27
.LBB0_18:
	s_waitcnt vmcnt(0)
	v_and_b32_e32 v4, 0x7fffffff, v2
	v_cmp_ngt_f32_e64 s5, 0x48000000, |v2|
                                        ; implicit-def: $vgpr6
                                        ; implicit-def: $vgpr5
	v_lshrrev_b32_e32 v9, 23, v4
	s_and_saveexec_b32 s0, s5
	s_xor_b32 s8, exec_lo, s0
	s_cbranch_execz .LBB0_20
; %bb.19:
	s_mov_b32 s0, 0x7fffff
	v_mov_b32_e32 v7, 0
	v_and_or_b32 v8, v4, s0, 0x800000
	v_add_nc_u32_e32 v15, 0xffffff88, v9
	v_mad_u64_u32 v[5:6], null, 0xfe5163ab, v8, 0
	v_cmp_lt_u32_e32 vcc_lo, 63, v15
	v_cndmask_b32_e64 v16, 0, 0xffffffc0, vcc_lo
	v_mad_u64_u32 v[10:11], null, 0x3c439041, v8, v[6:7]
	v_add_nc_u32_e32 v16, v16, v15
	v_mov_b32_e32 v6, v11
	v_cmp_lt_u32_e64 s0, 31, v16
	v_mad_u64_u32 v[11:12], null, 0xdb629599, v8, v[6:7]
	v_cndmask_b32_e64 v17, 0, 0xffffffe0, s0
	v_mov_b32_e32 v6, v12
	v_cndmask_b32_e32 v5, v11, v5, vcc_lo
	v_mad_u64_u32 v[12:13], null, 0xf534ddc0, v8, v[6:7]
	v_mov_b32_e32 v6, v13
	v_cndmask_b32_e32 v10, v12, v10, vcc_lo
	v_mad_u64_u32 v[13:14], null, 0xfc2757d1, v8, v[6:7]
	v_cndmask_b32_e64 v5, v10, v5, s0
	v_mov_b32_e32 v6, v14
	v_mad_u64_u32 v[14:15], null, 0x4e441529, v8, v[6:7]
	v_mov_b32_e32 v6, v15
	v_add_nc_u32_e32 v15, v17, v16
	v_cndmask_b32_e32 v16, v14, v12, vcc_lo
	v_mad_u64_u32 v[6:7], null, 0xa2f9836e, v8, v[6:7]
	v_cmp_lt_u32_e64 s1, 31, v15
	v_cndmask_b32_e64 v8, 0, 0xffffffe0, s1
	v_cndmask_b32_e32 v6, v6, v13, vcc_lo
	v_cndmask_b32_e32 v7, v7, v14, vcc_lo
	;; [unrolled: 1-line block ×3, first 2 shown]
	v_add_nc_u32_e32 v8, v8, v15
	v_cndmask_b32_e64 v12, v6, v16, s0
	v_cndmask_b32_e64 v6, v7, v6, s0
	;; [unrolled: 1-line block ×4, first 2 shown]
	v_sub_nc_u32_e32 v14, 32, v8
	v_cmp_eq_u32_e32 vcc_lo, 0, v8
	v_cndmask_b32_e64 v6, v6, v12, s1
	v_cndmask_b32_e64 v12, v12, v7, s1
	v_cndmask_b32_e64 v7, v7, v13, s1
	v_cndmask_b32_e64 v5, v13, v5, s1
	v_alignbit_b32 v15, v6, v12, v14
	v_alignbit_b32 v11, v12, v7, v14
	;; [unrolled: 1-line block ×3, first 2 shown]
	v_cndmask_b32_e32 v6, v15, v6, vcc_lo
	v_cndmask_b32_e32 v8, v11, v12, vcc_lo
	;; [unrolled: 1-line block ×3, first 2 shown]
	v_bfe_u32 v10, v6, 29, 1
	v_alignbit_b32 v11, v6, v8, 30
	v_alignbit_b32 v8, v8, v7, 30
	;; [unrolled: 1-line block ×3, first 2 shown]
	v_sub_nc_u32_e32 v12, 0, v10
	v_xor_b32_e32 v11, v11, v12
	v_xor_b32_e32 v7, v8, v12
	;; [unrolled: 1-line block ×3, first 2 shown]
	v_lshrrev_b32_e32 v12, 29, v6
	v_lshrrev_b32_e32 v6, 30, v6
	v_ffbh_u32_e32 v13, v11
	v_add_nc_u32_e32 v6, v10, v6
	v_min_u32_e32 v13, 32, v13
	v_sub_nc_u32_e32 v8, 31, v13
	v_lshlrev_b32_e32 v14, 23, v13
	v_alignbit_b32 v11, v11, v7, v8
	v_alignbit_b32 v5, v7, v5, v8
	v_lshlrev_b32_e32 v7, 31, v12
	v_alignbit_b32 v8, v11, v5, 9
	v_or_b32_e32 v12, 0.5, v7
	v_lshrrev_b32_e32 v11, 9, v11
	v_or_b32_e32 v7, 0x33000000, v7
	v_ffbh_u32_e32 v15, v8
	v_sub_nc_u32_e32 v12, v12, v14
	v_min_u32_e32 v14, 32, v15
	v_or_b32_e32 v11, v11, v12
	v_not_b32_e32 v12, v14
	v_mul_f32_e32 v15, 0x3fc90fda, v11
	v_add_lshl_u32 v13, v14, v13, 23
	v_alignbit_b32 v5, v8, v5, v12
	v_fma_f32 v8, 0x3fc90fda, v11, -v15
	v_sub_nc_u32_e32 v7, v7, v13
	v_lshrrev_b32_e32 v5, 9, v5
	v_fmamk_f32 v8, v11, 0x33a22168, v8
	v_or_b32_e32 v5, v7, v5
	v_fmac_f32_e32 v8, 0x3fc90fda, v5
	v_add_f32_e32 v5, v15, v8
	s_or_saveexec_b32 s0, s8
	v_mul_f32_e64 v10, 0x3f22f983, |v2|
	s_xor_b32 exec_lo, exec_lo, s0
	s_branch .LBB0_21
.LBB0_20:
	s_or_saveexec_b32 s0, s8
	v_mul_f32_e64 v10, 0x3f22f983, |v2|
	s_xor_b32 exec_lo, exec_lo, s0
.LBB0_21:
	v_rndne_f32_e32 v6, v10
	v_fma_f32 v5, 0xbfc90fda, v6, |v2|
	v_fmamk_f32 v5, v6, 0xb3a22168, v5
	v_fmamk_f32 v5, v6, 0xa7c234c4, v5
	v_cvt_i32_f32_e32 v6, v6
; %bb.22:
	s_or_b32 exec_lo, exec_lo, s0
                                        ; implicit-def: $vgpr8
                                        ; implicit-def: $vgpr7
	s_and_saveexec_b32 s0, s5
	s_xor_b32 s5, exec_lo, s0
	s_cbranch_execz .LBB0_24
; %bb.23:
	s_mov_b32 s0, 0x7fffff
	v_mov_b32_e32 v11, 0
	v_and_or_b32 v16, v4, s0, 0x800000
	v_mad_u64_u32 v[7:8], null, 0xfe5163ab, v16, 0
	v_mov_b32_e32 v10, v8
	v_mad_u64_u32 v[12:13], null, 0x3c439041, v16, v[10:11]
	v_mov_b32_e32 v10, v13
	;; [unrolled: 2-line block ×4, first 2 shown]
	v_add_nc_u32_e32 v15, 0xffffff88, v9
	v_mad_u64_u32 v[8:9], null, 0xfc2757d1, v16, v[10:11]
	v_cmp_lt_u32_e32 vcc_lo, 63, v15
	v_cndmask_b32_e64 v17, 0, 0xffffffc0, vcc_lo
	v_mov_b32_e32 v10, v9
	v_cndmask_b32_e32 v12, v14, v12, vcc_lo
	v_cndmask_b32_e32 v7, v13, v7, vcc_lo
	v_add_nc_u32_e32 v15, v17, v15
	v_mad_u64_u32 v[9:10], null, 0x4e441529, v16, v[10:11]
	v_cmp_lt_u32_e64 s0, 31, v15
	v_mad_u64_u32 v[10:11], null, 0xa2f9836e, v16, v[10:11]
	v_cndmask_b32_e64 v17, 0, 0xffffffe0, s0
	v_cndmask_b32_e64 v7, v12, v7, s0
	v_add_nc_u32_e32 v15, v17, v15
	v_cndmask_b32_e32 v17, v9, v14, vcc_lo
	v_cndmask_b32_e32 v10, v10, v8, vcc_lo
	;; [unrolled: 1-line block ×4, first 2 shown]
	v_cmp_lt_u32_e64 s1, 31, v15
	v_cndmask_b32_e64 v14, v10, v17, s0
	v_cndmask_b32_e64 v9, v9, v10, s0
	;; [unrolled: 1-line block ×7, first 2 shown]
	v_add_nc_u32_e32 v11, v16, v15
	v_cndmask_b32_e64 v10, v10, v8, s1
	v_cndmask_b32_e64 v7, v8, v7, s1
	v_sub_nc_u32_e32 v15, 32, v11
	v_cmp_eq_u32_e32 vcc_lo, 0, v11
	v_alignbit_b32 v16, v9, v14, v15
	v_alignbit_b32 v13, v14, v10, v15
	v_cndmask_b32_e32 v9, v16, v9, vcc_lo
	v_cndmask_b32_e32 v11, v13, v14, vcc_lo
	v_alignbit_b32 v14, v10, v7, v15
	v_bfe_u32 v12, v9, 29, 1
	v_alignbit_b32 v8, v9, v11, 30
	v_cndmask_b32_e32 v10, v14, v10, vcc_lo
	v_sub_nc_u32_e32 v13, 0, v12
	v_alignbit_b32 v11, v11, v10, 30
	v_alignbit_b32 v7, v10, v7, 30
	v_xor_b32_e32 v8, v8, v13
	v_xor_b32_e32 v10, v11, v13
	v_xor_b32_e32 v7, v7, v13
	v_lshrrev_b32_e32 v13, 29, v9
	v_ffbh_u32_e32 v14, v8
	v_lshrrev_b32_e32 v9, 30, v9
	v_min_u32_e32 v14, 32, v14
	v_sub_nc_u32_e32 v11, 31, v14
	v_lshlrev_b32_e32 v15, 23, v14
	v_alignbit_b32 v8, v8, v10, v11
	v_alignbit_b32 v7, v10, v7, v11
	v_lshlrev_b32_e32 v10, 31, v13
	v_alignbit_b32 v11, v8, v7, 9
	v_or_b32_e32 v13, 0.5, v10
	v_lshrrev_b32_e32 v8, 9, v8
	v_or_b32_e32 v10, 0x33000000, v10
	v_ffbh_u32_e32 v16, v11
	v_sub_nc_u32_e32 v13, v13, v15
	v_min_u32_e32 v15, 32, v16
	v_or_b32_e32 v8, v8, v13
	v_not_b32_e32 v13, v15
	v_mul_f32_e32 v16, 0x3fc90fda, v8
	v_add_lshl_u32 v14, v15, v14, 23
	v_alignbit_b32 v7, v11, v7, v13
	v_fma_f32 v11, 0x3fc90fda, v8, -v16
	v_sub_nc_u32_e32 v10, v10, v14
	v_lshrrev_b32_e32 v7, 9, v7
	v_fmamk_f32 v8, v8, 0x33a22168, v11
	v_or_b32_e32 v7, v10, v7
                                        ; implicit-def: $vgpr10
	v_fmac_f32_e32 v8, 0x3fc90fda, v7
	v_add_f32_e32 v7, v16, v8
	v_add_nc_u32_e32 v8, v12, v9
	s_andn2_saveexec_b32 s0, s5
	s_cbranch_execnz .LBB0_25
	s_branch .LBB0_26
.LBB0_24:
	s_andn2_saveexec_b32 s0, s5
.LBB0_25:
	v_rndne_f32_e32 v8, v10
	v_fma_f32 v7, 0xbfc90fda, v8, |v2|
	v_fmamk_f32 v7, v8, 0xb3a22168, v7
	v_fmamk_f32 v7, v8, 0xa7c234c4, v7
	v_cvt_i32_f32_e32 v8, v8
.LBB0_26:
	s_or_b32 exec_lo, exec_lo, s0
	v_add_f32_e64 v9, 0xbf317218, |v3|
	s_mov_b32 s0, 0x3ab42872
	s_mov_b32 s1, 0x37d75334
	v_sub_f32_e64 v10, v9, |v3|
	v_sub_f32_e32 v11, v10, v9
	v_add_f32_e32 v10, 0x3f317218, v10
	v_add_f32_e64 v11, |v3|, v11
	v_sub_f32_e32 v10, v11, v10
	v_add_f32_e32 v10, 0x3102e308, v10
	v_add_f32_e32 v11, v9, v10
	v_mul_f32_e32 v12, 0x3fb8aa3b, v11
	v_sub_f32_e32 v9, v9, v11
	v_rndne_f32_e32 v12, v12
	v_add_f32_e32 v9, v10, v9
	v_fmamk_f32 v10, v12, 0xbf317200, v11
	v_mul_f32_e32 v11, 0x35bfbc00, v12
	v_add_f32_e32 v13, v9, v10
	v_sub_f32_e32 v14, v13, v11
	v_sub_f32_e32 v10, v10, v13
	v_sub_f32_e32 v13, v13, v14
	v_add_f32_e32 v9, v9, v10
	v_sub_f32_e32 v10, v13, v11
	v_add_f32_e32 v9, v9, v10
	v_mul_f32_e32 v10, 0x2ea39ef3, v12
	v_add_f32_e32 v11, v14, v9
	v_sub_f32_e32 v13, v11, v10
	v_sub_f32_e32 v14, v14, v11
	;; [unrolled: 1-line block ×3, first 2 shown]
	v_add_f32_e32 v9, v9, v14
	v_sub_f32_e32 v10, v11, v10
	v_add_f32_e32 v9, v9, v10
	v_add_f32_e32 v10, v13, v9
	v_sub_f32_e32 v11, v13, v10
	v_mul_f32_e32 v13, v10, v10
	v_add_f32_e32 v9, v9, v11
	v_fmaak_f32 v11, s0, v10, 0x3c091de6
	v_fma_f32 v14, v10, v10, -v13
	s_mov_b32 s0, 0xb94c1982
	v_add_f32_e32 v15, v9, v9
	v_fmaak_f32 v11, v10, v11, 0x3d2aadcc
	v_fmac_f32_e32 v14, v10, v15
	v_fmaak_f32 v11, v10, v11, 0x3e2aaa47
	v_add_f32_e32 v15, v13, v14
	v_fmaak_f32 v11, v10, v11, 0x3efffffc
	v_sub_f32_e32 v13, v15, v13
	v_mul_f32_e32 v16, v11, v15
	v_sub_f32_e32 v13, v14, v13
	v_fma_f32 v14, v15, v11, -v16
	v_fmac_f32_e32 v14, v13, v11
	v_add_f32_e32 v11, v16, v14
	v_sub_f32_e32 v13, v11, v16
	v_add_f32_e32 v15, v10, v11
	v_sub_f32_e32 v13, v14, v13
	v_sub_f32_e32 v10, v15, v10
	v_add_f32_e32 v9, v9, v13
	v_sub_f32_e32 v10, v11, v10
	v_add_f32_e32 v9, v9, v10
	v_add_f32_e32 v10, v15, v9
	v_add_f32_e32 v11, 1.0, v10
	v_sub_f32_e32 v13, v10, v15
	v_add_f32_e32 v14, -1.0, v11
	v_sub_f32_e32 v9, v9, v13
	v_sub_f32_e32 v10, v10, v14
	v_add_f32_e32 v9, v9, v10
	v_cvt_i32_f32_e32 v10, v12
	v_add_f32_e32 v12, v11, v9
	v_ldexp_f32 v13, v12, v10
	v_sub_f32_e32 v11, v12, v11
	v_rcp_f32_e32 v14, v13
	v_sub_f32_e32 v9, v9, v11
	v_ldexp_f32 v9, v9, v10
	v_mul_f32_e32 v11, v13, v14
	v_fma_f32 v10, v14, v13, -v11
	v_fmac_f32_e32 v10, v14, v9
	v_add_f32_e32 v12, v11, v10
	v_sub_f32_e32 v15, 1.0, v12
	v_sub_f32_e32 v11, v12, v11
	v_sub_f32_e32 v16, 1.0, v15
	v_sub_f32_e32 v10, v11, v10
	v_sub_f32_e32 v11, v16, v12
	v_add_f32_e32 v10, v10, v11
	v_add_f32_e32 v11, v15, v10
	v_mul_f32_e32 v12, v14, v11
	v_sub_f32_e32 v15, v15, v11
	v_mul_f32_e32 v16, v13, v12
	v_add_f32_e32 v10, v10, v15
	v_fma_f32 v17, v12, v13, -v16
	v_fmac_f32_e32 v17, v12, v9
	v_add_f32_e32 v18, v16, v17
	v_sub_f32_e32 v19, v11, v18
	v_sub_f32_e32 v15, v18, v16
	v_sub_f32_e32 v11, v11, v19
	v_sub_f32_e32 v15, v15, v17
	v_sub_f32_e32 v11, v11, v18
	v_add_f32_e32 v10, v10, v11
	v_add_f32_e32 v11, v14, v12
	;; [unrolled: 1-line block ×3, first 2 shown]
	v_sub_f32_e32 v15, v11, v14
	v_add_f32_e32 v10, v19, v10
	v_sub_f32_e32 v12, v12, v15
	v_mul_f32_e32 v15, v5, v5
	v_mul_f32_e32 v10, v14, v10
	v_lshlrev_b32_e32 v14, 30, v6
	v_fmaak_f32 v16, s0, v15, 0x3c0881c4
	v_fmaak_f32 v18, s1, v15, 0xbab64f3b
	v_and_b32_e32 v6, 1, v6
	v_add_f32_e32 v10, v12, v10
	v_mul_f32_e32 v12, v7, v7
	v_and_b32_e32 v14, 0x80000000, v14
	v_fmaak_f32 v16, v15, v16, 0xbe2aaa9d
	v_fmaak_f32 v18, v15, v18, 0x3d2aabf7
	v_add_f32_e32 v17, v11, v10
	v_fmaak_f32 v19, s0, v12, 0x3c0881c4
	v_xor_b32_e32 v4, v4, v14
	v_fmaak_f32 v20, s1, v12, 0xbab64f3b
	v_mul_f32_e32 v16, v15, v16
	v_sub_f32_e32 v11, v17, v11
	v_ldexp_f32 v17, v17, -2
	v_fmaak_f32 v14, v12, v19, 0xbe2aaa9d
	v_fmaak_f32 v20, v12, v20, 0x3d2aabf7
	;; [unrolled: 1-line block ×3, first 2 shown]
	v_sub_f32_e32 v10, v10, v11
	v_add_f32_e32 v11, v13, v17
	v_sub_f32_e32 v19, v13, v17
	v_mul_f32_e32 v14, v12, v14
	v_fmac_f32_e32 v5, v5, v16
	v_ldexp_f32 v10, v10, -2
	v_sub_f32_e32 v21, v11, v13
	v_sub_f32_e32 v13, v13, v19
	v_fma_f32 v15, v15, v18, 1.0
	v_cmp_eq_u32_e32 vcc_lo, 0, v6
	v_add_f32_e32 v22, v9, v10
	v_sub_f32_e32 v21, v17, v21
	v_sub_f32_e32 v13, v13, v17
	v_fmaak_f32 v17, v12, v20, 0xbf000004
	v_fmac_f32_e32 v7, v7, v14
	v_cndmask_b32_e32 v5, v15, v5, vcc_lo
	v_add_f32_e32 v16, v22, v21
	v_add_f32_e32 v9, v9, v13
	v_cmp_lt_f32_e64 s0, 0x42b2d4fc, |v3|
	v_xor3_b32 v4, v4, v5, v2
	v_add_f32_e32 v6, v11, v16
	v_sub_f32_e32 v9, v9, v10
	v_and_b32_e32 v10, 1, v8
	v_fma_f32 v11, v12, v17, 1.0
	v_lshlrev_b32_e32 v8, 30, v8
	v_cndmask_b32_e64 v6, v6, 0x7f800000, s0
	v_add_f32_e32 v9, v19, v9
	v_cmp_eq_u32_e32 vcc_lo, 0, v10
	v_and_b32_e32 v8, 0x80000000, v8
	v_cndmask_b32_e64 v9, v9, 0x7f800000, s0
	v_cndmask_b32_e64 v7, -v7, v11, vcc_lo
	v_cmp_gt_f32_e64 s0, 0x39800000, |v3|
	v_cmp_class_f32_e64 vcc_lo, v2, 0x1f8
	v_xor_b32_e32 v5, v8, v7
	v_cndmask_b32_e64 v7, v9, |v3|, s0
	v_cndmask_b32_e32 v4, 0x7fc00000, v4, vcc_lo
	v_cndmask_b32_e32 v5, 0x7fc00000, v5, vcc_lo
	v_bfi_b32 v7, 0x7fffffff, v7, v3
	v_mul_f32_e32 v4, v6, v4
	v_mul_f32_e32 v5, v7, v5
.LBB0_27:
	s_cbranch_execnz .LBB0_8
.LBB0_28:
	s_cmp_gt_i32 s4, 4
	s_cbranch_scc0 .LBB0_30
; %bb.29:
	s_waitcnt vmcnt(0)
	v_max_f32_e64 v4, |v3|, |v3|
	v_max_f32_e64 v5, |v2|, |v2|
	s_mov_b32 s0, 0x3b2d2a58
	v_cmp_gt_f32_e64 vcc_lo, |v3|, |v2|
	v_cmp_class_f32_e64 s1, v2, 0x204
	v_cmp_class_f32_e64 s5, v3, 0x204
	v_max_f32_e32 v6, v5, v4
	v_min_f32_e32 v4, v5, v4
	v_frexp_mant_f32_e32 v7, v6
	v_frexp_exp_i32_f32_e32 v6, v6
	v_rcp_f32_e32 v5, v7
	v_frexp_exp_i32_f32_e32 v7, v4
	v_frexp_mant_f32_e32 v4, v4
	v_sub_nc_u32_e32 v6, v7, v6
	v_mul_f32_e32 v4, v4, v5
	v_ldexp_f32 v4, v4, v6
	v_mul_f32_e32 v5, v4, v4
	v_fmaak_f32 v6, s0, v5, 0xbc7a590c
	v_cmp_eq_f32_e64 s0, 0, v3
	v_fmaak_f32 v6, v5, v6, 0x3d29fb3f
	v_fmaak_f32 v6, v5, v6, 0xbd97d4d7
	;; [unrolled: 1-line block ×6, first 2 shown]
	v_mul_f32_e32 v5, v5, v6
	v_fmac_f32_e32 v4, v4, v5
	v_sub_f32_e32 v5, 0x3fc90fdb, v4
	v_cndmask_b32_e32 v4, v4, v5, vcc_lo
	v_cmp_gt_i32_e32 vcc_lo, 0, v2
	v_sub_f32_e32 v5, 0x40490fdb, v4
	v_cndmask_b32_e64 v6, 0, 0x40490fdb, vcc_lo
	v_cmp_gt_f32_e32 vcc_lo, 0, v2
	v_cndmask_b32_e32 v4, v4, v5, vcc_lo
	v_mov_b32_e32 v5, 0x4016cbe4
	v_cndmask_b32_e64 v4, v4, v6, s0
	v_cndmask_b32_e32 v5, 0x3f490fdb, v5, vcc_lo
	s_and_b32 vcc_lo, s1, s5
	v_cndmask_b32_e32 v4, v4, v5, vcc_lo
	v_cmp_o_f32_e32 vcc_lo, v3, v2
	v_cndmask_b32_e32 v4, 0x7fc00000, v4, vcc_lo
	v_bfi_b32 v4, 0x7fffffff, v4, v3
	s_cbranch_execz .LBB0_31
	s_branch .LBB0_34
.LBB0_30:
                                        ; implicit-def: $vgpr4
.LBB0_31:
	s_waitcnt vmcnt(0)
	v_cmp_lt_f32_e64 s0, |v2|, |v3|
	s_mov_b32 s1, exec_lo
	v_cndmask_b32_e64 v4, |v2|, |v3|, s0
	v_cmpx_neq_f32_e32 0, v4
	s_cbranch_execz .LBB0_33
; %bb.32:
	v_div_scale_f32 v5, null, v4, v4, v2
	v_div_scale_f32 v6, null, v4, v4, v3
	v_div_scale_f32 v11, vcc_lo, v2, v4, v2
	v_rcp_f32_e32 v7, v5
	v_rcp_f32_e32 v8, v6
	v_fma_f32 v9, -v5, v7, 1.0
	v_fma_f32 v10, -v6, v8, 1.0
	v_fmac_f32_e32 v7, v9, v7
	v_div_scale_f32 v9, s0, v3, v4, v3
	v_fmac_f32_e32 v8, v10, v8
	v_mul_f32_e32 v10, v11, v7
	v_mul_f32_e32 v12, v9, v8
	v_fma_f32 v13, -v5, v10, v11
	v_fma_f32 v14, -v6, v12, v9
	v_fmac_f32_e32 v10, v13, v7
	v_fmac_f32_e32 v12, v14, v8
	v_fma_f32 v5, -v5, v10, v11
	v_fma_f32 v6, -v6, v12, v9
	v_div_fmas_f32 v5, v5, v7, v10
	s_mov_b32 vcc_lo, s0
	v_div_fmas_f32 v6, v6, v8, v12
	v_div_fixup_f32 v5, v5, v4, v2
	v_div_fixup_f32 v6, v6, v4, v3
	v_mul_f32_e32 v6, v6, v6
	v_fmac_f32_e32 v6, v5, v5
	v_mul_f32_e32 v5, 0x4f800000, v6
	v_cmp_gt_f32_e32 vcc_lo, 0xf800000, v6
	v_cndmask_b32_e32 v5, v6, v5, vcc_lo
	v_sqrt_f32_e32 v6, v5
	v_add_nc_u32_e32 v7, -1, v6
	v_add_nc_u32_e32 v8, 1, v6
	v_fma_f32 v9, -v7, v6, v5
	v_fma_f32 v10, -v8, v6, v5
	v_cmp_ge_f32_e64 s0, 0, v9
	v_cndmask_b32_e64 v6, v6, v7, s0
	v_cmp_lt_f32_e64 s0, 0, v10
	v_cndmask_b32_e64 v6, v6, v8, s0
	v_mul_f32_e32 v7, 0x37800000, v6
	v_cndmask_b32_e32 v6, v6, v7, vcc_lo
	v_cmp_class_f32_e64 vcc_lo, v5, 0x260
	v_cndmask_b32_e32 v5, v6, v5, vcc_lo
	v_mul_f32_e32 v4, v4, v5
.LBB0_33:
	s_or_b32 exec_lo, exec_lo, s1
.LBB0_34:
	v_mov_b32_e32 v5, 0
	s_cbranch_execnz .LBB0_59
.LBB0_35:
	v_add_co_u32 v4, vcc_lo, s2, v0
	v_add_co_ci_u32_e64 v5, null, s3, v1, vcc_lo
	s_cmp_lt_i32 s4, 2
	global_load_dwordx2 v[6:7], v[4:5], off
	s_cbranch_scc1 .LBB0_53
; %bb.36:
	s_cmp_gt_i32 s4, 2
	s_cbranch_scc0 .LBB0_54
; %bb.37:
	s_waitcnt vmcnt(0)
	v_max_f32_e64 v4, |v7|, |v7|
	v_max_f32_e64 v5, |v6|, |v6|
	v_max_f32_e32 v8, v5, v4
	v_cvt_f64_f32_e32 v[4:5], v8
	v_cmp_lg_f32_e32 vcc_lo, 0x7f800000, v8
	v_frexp_exp_i32_f64_e32 v4, v[4:5]
	v_add_nc_u32_e32 v4, -1, v4
	v_cvt_f32_i32_e32 v4, v4
	v_cndmask_b32_e32 v4, v8, v4, vcc_lo
	v_cmp_neq_f32_e32 vcc_lo, 0, v8
	v_cndmask_b32_e32 v10, 0xff800000, v4, vcc_lo
	v_cvt_i32_f32_e32 v4, v10
	v_cmp_class_f32_e64 vcc_lo, v10, 0x1f8
	v_sub_nc_u32_e32 v5, 0, v4
	v_cndmask_b32_e32 v4, 0, v4, vcc_lo
	v_ldexp_f32 v8, v6, v5
	v_ldexp_f32 v5, v7, v5
	v_cndmask_b32_e32 v8, v6, v8, vcc_lo
	v_cndmask_b32_e32 v9, v7, v5, vcc_lo
	v_mul_f32_e32 v11, v9, v9
	v_mul_f32_e32 v5, v3, v9
	;; [unrolled: 1-line block ×3, first 2 shown]
	v_fmac_f32_e32 v11, v8, v8
	v_fmac_f32_e32 v5, v8, v2
	v_fma_f32 v12, v3, v8, -v12
	v_div_scale_f32 v13, null, v11, v11, v5
	v_div_scale_f32 v14, null, v11, v11, v12
	v_div_scale_f32 v19, s0, v5, v11, v5
	v_rcp_f32_e32 v15, v13
	v_rcp_f32_e32 v16, v14
	s_mov_b32 vcc_lo, s0
	v_fma_f32 v17, -v13, v15, 1.0
	v_fma_f32 v18, -v14, v16, 1.0
	v_fmac_f32_e32 v15, v17, v15
	v_div_scale_f32 v17, s1, v12, v11, v12
	v_fmac_f32_e32 v16, v18, v16
	v_mul_f32_e32 v18, v19, v15
	v_mul_f32_e32 v20, v17, v16
	v_fma_f32 v21, -v13, v18, v19
	v_fma_f32 v22, -v14, v20, v17
	v_fmac_f32_e32 v18, v21, v15
	v_fmac_f32_e32 v20, v22, v16
	v_fma_f32 v13, -v13, v18, v19
	v_fma_f32 v14, -v14, v20, v17
	v_div_fmas_f32 v13, v13, v15, v18
	s_mov_b32 vcc_lo, s1
	s_mov_b32 s1, 0
	v_div_fmas_f32 v14, v14, v16, v20
	v_div_fixup_f32 v5, v13, v11, v5
	v_sub_nc_u32_e32 v13, 0, v4
	v_div_fixup_f32 v12, v14, v11, v12
	v_ldexp_f32 v4, v5, v13
	v_ldexp_f32 v5, v12, v13
	v_cmp_u_f32_e32 vcc_lo, v4, v4
	v_cmp_u_f32_e64 s0, v5, v5
	s_and_b32 s0, vcc_lo, s0
	s_and_saveexec_b32 s2, s0
	s_cbranch_execz .LBB0_51
; %bb.38:
	v_cmp_neq_f32_e64 s3, 0, v11
	v_cmp_eq_f32_e32 vcc_lo, 0, v11
                                        ; implicit-def: $vgpr11
                                        ; implicit-def: $vgpr12
	s_and_saveexec_b32 s5, vcc_lo
	s_cbranch_execz .LBB0_42
; %bb.39:
	v_cmp_o_f32_e32 vcc_lo, v2, v2
	v_cmp_o_f32_e64 s0, v3, v3
                                        ; implicit-def: $vgpr11
                                        ; implicit-def: $vgpr12
	s_or_b32 s9, vcc_lo, s0
	s_mov_b32 s0, -1
	s_and_saveexec_b32 s8, s9
; %bb.40:
	s_mov_b32 s0, 0x7f800000
	v_bfi_b32 v11, 0x7fffffff, s0, v8
	s_xor_b32 s0, exec_lo, -1
	v_mul_f32_e32 v12, v11, v2
	v_mul_f32_e32 v11, v3, v11
; %bb.41:
	s_or_b32 exec_lo, exec_lo, s8
	s_andn2_b32 s3, s3, exec_lo
	s_and_b32 s0, s0, exec_lo
	s_or_b32 s3, s3, s0
.LBB0_42:
	s_or_b32 exec_lo, exec_lo, s5
	s_and_saveexec_b32 s0, s3
	s_cbranch_execz .LBB0_50
; %bb.43:
	v_cmp_class_f32_e64 s3, v2, 0x204
	v_cmp_class_f32_e64 s5, v3, 0x204
	v_cmp_nlg_f32_e64 s8, 0x7f800000, |v8|
	v_cmp_nlg_f32_e64 s9, 0x7f800000, |v9|
	s_nor_b32 s10, s3, s5
	s_or_b32 s8, s10, s8
	s_or_b32 s8, s8, s9
	s_and_saveexec_b32 s9, s8
	s_xor_b32 s8, exec_lo, s9
	s_cbranch_execz .LBB0_47
; %bb.44:
	v_cmp_class_f32_e64 s9, v2, 0x1f8
	v_cmp_class_f32_e64 s10, v3, 0x1f8
	v_cmp_eq_f32_e32 vcc_lo, 0x7f800000, v10
	s_and_b32 s9, s9, s10
	s_and_b32 s10, s9, vcc_lo
	s_and_saveexec_b32 s9, s10
	s_cbranch_execz .LBB0_46
; %bb.45:
	v_cmp_class_f32_e64 s10, v8, 0x204
	v_mov_b32_e32 v4, 0
	v_cndmask_b32_e64 v5, 0, 0x3ff00000, s10
	v_cmp_class_f32_e64 s10, v9, 0x204
	v_cvt_f32_f64_e32 v10, v[4:5]
	v_cndmask_b32_e64 v5, 0, 0x3ff00000, s10
	v_cvt_f32_f64_e32 v4, v[4:5]
	v_bfi_b32 v5, 0x7fffffff, v10, v8
	v_bfi_b32 v4, 0x7fffffff, v4, v9
	v_mul_f32_e32 v8, v3, v4
	v_mul_f32_e32 v4, v2, v4
	v_fmac_f32_e32 v8, v2, v5
	v_fma_f32 v5, v3, v5, -v4
	v_mul_f32_e32 v4, 0, v8
	v_mul_f32_e32 v5, 0, v5
.LBB0_46:
	s_or_b32 exec_lo, exec_lo, s9
                                        ; implicit-def: $vgpr9
                                        ; implicit-def: $vgpr8
.LBB0_47:
	s_andn2_saveexec_b32 s8, s8
	s_cbranch_execz .LBB0_49
; %bb.48:
	v_cndmask_b32_e64 v4, 0, 1, s5
	v_cndmask_b32_e64 v10, 0, 1, s3
	v_cvt_f64_u32_e32 v[4:5], v4
	v_cvt_f64_u32_e32 v[10:11], v10
	v_cvt_f32_f64_e32 v4, v[4:5]
	v_cvt_f32_f64_e32 v5, v[10:11]
	v_bfi_b32 v4, 0x7fffffff, v4, v3
	v_bfi_b32 v5, 0x7fffffff, v5, v2
	v_mul_f32_e32 v10, v9, v4
	v_mul_f32_e32 v9, v9, v5
	v_fmac_f32_e32 v10, v8, v5
	v_fma_f32 v5, v8, v4, -v9
	v_mul_f32_e32 v4, 0x7f800000, v10
	v_mul_f32_e32 v5, 0x7f800000, v5
.LBB0_49:
	s_or_b32 exec_lo, exec_lo, s8
	v_mov_b32_e32 v11, v5
	v_mov_b32_e32 v12, v4
.LBB0_50:
	s_or_b32 exec_lo, exec_lo, s0
	v_mov_b32_e32 v5, v11
	v_mov_b32_e32 v4, v12
.LBB0_51:
	s_or_b32 exec_lo, exec_lo, s2
	s_andn2_b32 vcc_lo, exec_lo, s1
	s_cbranch_vccz .LBB0_55
; %bb.52:
	s_cbranch_execnz .LBB0_59
	s_branch .LBB0_57
.LBB0_53:
                                        ; implicit-def: $vgpr5
	s_branch .LBB0_57
.LBB0_54:
                                        ; implicit-def: $vgpr5
.LBB0_55:
	s_waitcnt vmcnt(0)
	v_mul_f32_e32 v13, v3, v7
	v_mul_f32_e32 v12, v3, v6
	s_mov_b32 s3, exec_lo
	v_fma_f32 v4, v2, v6, -v13
	v_fma_f32 v5, v2, v7, v12
	v_cmpx_u_f32_e32 v4, v4
	s_cbranch_execnz .LBB0_64
.LBB0_56:
	s_or_b32 exec_lo, exec_lo, s3
	s_cbranch_execnz .LBB0_59
.LBB0_57:
	s_cmp_gt_i32 s4, 0
	s_mov_b32 s0, 0
	s_cbranch_scc0 .LBB0_60
; %bb.58:
	s_waitcnt vmcnt(0)
	v_sub_f32_e32 v4, v2, v6
	v_sub_f32_e32 v5, v3, v7
	s_andn2_b32 vcc_lo, exec_lo, s0
	s_cbranch_vccz .LBB0_61
.LBB0_59:
	v_add_co_u32 v0, vcc_lo, s6, v0
	v_add_co_ci_u32_e64 v1, null, s7, v1, vcc_lo
	global_store_dwordx2 v[0:1], v[4:5], off
	s_endpgm
.LBB0_60:
                                        ; implicit-def: $vgpr5
.LBB0_61:
	s_cmp_lg_u32 s4, 0
	s_cbranch_scc1 .LBB0_63
; %bb.62:
	s_waitcnt vmcnt(0)
	v_add_f32_e32 v2, v6, v2
	v_add_f32_e32 v3, v3, v7
.LBB0_63:
	s_waitcnt vmcnt(1)
	v_mov_b32_e32 v5, v3
	v_mov_b32_e32 v4, v2
	v_add_co_u32 v0, vcc_lo, s6, v0
	v_add_co_ci_u32_e64 v1, null, s7, v1, vcc_lo
	global_store_dwordx2 v[0:1], v[4:5], off
	s_endpgm
.LBB0_64:
	s_mov_b32 s5, exec_lo
	v_cmpx_u_f32_e32 v5, v5
	s_cbranch_execnz .LBB0_66
.LBB0_65:
	s_or_b32 exec_lo, exec_lo, s5
	s_branch .LBB0_56
.LBB0_66:
	v_cmp_class_f32_e64 s2, v2, 0x204
	v_cmp_class_f32_e64 s0, v3, 0x204
	v_mov_b32_e32 v14, 0
	v_mov_b32_e32 v8, v7
	;; [unrolled: 1-line block ×5, first 2 shown]
	s_or_b32 s8, s2, s0
	s_and_saveexec_b32 s1, s8
	s_cbranch_execz .LBB0_70
; %bb.67:
	v_cndmask_b32_e64 v8, 0, 1, s2
	v_cndmask_b32_e64 v10, 0, 1, s0
	v_bfi_b32 v14, 0x7fffffff, 0, v6
	s_mov_b32 s2, exec_lo
	v_cmp_u_f32_e32 vcc_lo, v6, v6
	v_cvt_f64_u32_e32 v[8:9], v8
	v_cvt_f64_u32_e32 v[10:11], v10
	v_cvt_f32_f64_e32 v9, v[8:9]
	v_cvt_f32_f64_e32 v10, v[10:11]
	v_mov_b32_e32 v8, v7
	v_cmpx_u_f32_e32 v7, v7
; %bb.68:
	v_bfi_b32 v8, 0x7fffffff, 0, v7
; %bb.69:
	s_or_b32 exec_lo, exec_lo, s2
	v_bfi_b32 v11, 0x7fffffff, v9, v2
	v_bfi_b32 v10, 0x7fffffff, v10, v3
	v_cndmask_b32_e32 v9, v6, v14, vcc_lo
	v_mov_b32_e32 v14, 1
.LBB0_70:
	s_or_b32 exec_lo, exec_lo, s1
	v_cmp_class_f32_e64 s2, v9, 0x204
	v_cmp_class_f32_e64 s0, v8, 0x204
	s_or_b32 s8, s0, s2
	s_and_saveexec_b32 s1, s8
	s_cbranch_execz .LBB0_74
; %bb.71:
	v_cndmask_b32_e64 v14, 0, 1, s2
	v_cndmask_b32_e64 v16, 0, 1, s0
	s_mov_b32 s2, exec_lo
	v_cmp_u_f32_e32 vcc_lo, v11, v11
	v_cvt_f64_u32_e32 v[14:15], v14
	v_cvt_f64_u32_e32 v[16:17], v16
	v_cvt_f32_f64_e32 v14, v[14:15]
	v_cvt_f32_f64_e32 v15, v[16:17]
	v_bfi_b32 v16, 0x7fffffff, 0, v11
	v_cmpx_u_f32_e32 v10, v10
; %bb.72:
	v_bfi_b32 v10, 0x7fffffff, 0, v10
; %bb.73:
	s_or_b32 exec_lo, exec_lo, s2
	v_bfi_b32 v9, 0x7fffffff, v14, v9
	v_bfi_b32 v8, 0x7fffffff, v15, v8
	v_cndmask_b32_e32 v11, v11, v16, vcc_lo
	v_mov_b32_e32 v14, 1
.LBB0_74:
	s_or_b32 exec_lo, exec_lo, s1
	s_mov_b32 s2, 0
	s_mov_b32 s0, -1
	s_mov_b32 s8, exec_lo
	v_cmpx_eq_u32_e32 0, v14
	s_cbranch_execz .LBB0_80
; %bb.75:
	v_mul_f32_e32 v14, v2, v7
	v_cmp_class_f32_e64 s0, v13, 0x204
	v_mul_f32_e32 v15, v2, v6
	s_mov_b32 s9, exec_lo
	v_cndmask_b32_e64 v13, 0, 1, s0
	v_cmp_class_f32_e64 s0, v14, 0x204
	v_lshlrev_b16 v13, 1, v13
	v_cndmask_b32_e64 v14, 0, 1, s0
	v_cmp_class_f32_e64 s0, v12, 0x204
	v_lshlrev_b16 v14, 2, v14
	v_cndmask_b32_e64 v12, 0, 1, s0
	v_cmp_class_f32_e64 s0, v15, 0x204
	v_lshlrev_b16 v12, 3, v12
	v_cndmask_b32_e64 v15, 0, 1, s0
	v_or_b32_e32 v12, v12, v14
	v_or_b32_e32 v13, v15, v13
	v_and_b32_e32 v13, 3, v13
	v_or_b32_e32 v12, v13, v12
	v_and_b32_e32 v12, 15, v12
	v_cmpx_ne_u16_e32 0, v12
	s_cbranch_execz .LBB0_79
; %bb.76:
	v_bfi_b32 v12, 0x7fffffff, 0, v11
	v_cmp_u_f32_e64 s0, v10, v10
	v_bfi_b32 v13, 0x7fffffff, 0, v10
	v_cmp_u_f32_e64 s1, v9, v9
	v_bfi_b32 v14, 0x7fffffff, 0, v9
	s_mov_b32 s10, exec_lo
	v_cmp_u_f32_e32 vcc_lo, v11, v11
	v_cmpx_u_f32_e32 v8, v8
; %bb.77:
	v_bfi_b32 v8, 0x7fffffff, 0, v8
; %bb.78:
	s_or_b32 exec_lo, exec_lo, s10
	v_cndmask_b32_e32 v11, v11, v12, vcc_lo
	v_cndmask_b32_e64 v10, v10, v13, s0
	v_cndmask_b32_e64 v9, v9, v14, s1
	s_mov_b32 s2, exec_lo
.LBB0_79:
	s_or_b32 exec_lo, exec_lo, s9
	s_orn2_b32 s0, s2, exec_lo
.LBB0_80:
	s_or_b32 exec_lo, exec_lo, s8
	s_and_saveexec_b32 s1, s0
; %bb.81:
	v_mul_f32_e32 v4, v8, v10
	v_mul_f32_e32 v5, v8, v11
	v_fma_f32 v4, v9, v11, -v4
	v_fmac_f32_e32 v5, v9, v10
	v_mul_f32_e32 v4, 0x7f800000, v4
	v_mul_f32_e32 v5, 0x7f800000, v5
; %bb.82:
	s_or_b32 exec_lo, exec_lo, s1
	s_branch .LBB0_65
	.section	.rodata,"a",@progbits
	.p2align	6, 0x0
	.amdhsa_kernel _Z6kernelIfEvPSt7complexIT_ES3_S3_8CalcKind
		.amdhsa_group_segment_fixed_size 0
		.amdhsa_private_segment_fixed_size 0
		.amdhsa_kernarg_size 288
		.amdhsa_user_sgpr_count 6
		.amdhsa_user_sgpr_private_segment_buffer 1
		.amdhsa_user_sgpr_dispatch_ptr 0
		.amdhsa_user_sgpr_queue_ptr 0
		.amdhsa_user_sgpr_kernarg_segment_ptr 1
		.amdhsa_user_sgpr_dispatch_id 0
		.amdhsa_user_sgpr_flat_scratch_init 0
		.amdhsa_user_sgpr_private_segment_size 0
		.amdhsa_wavefront_size32 1
		.amdhsa_uses_dynamic_stack 0
		.amdhsa_system_sgpr_private_segment_wavefront_offset 0
		.amdhsa_system_sgpr_workgroup_id_x 1
		.amdhsa_system_sgpr_workgroup_id_y 0
		.amdhsa_system_sgpr_workgroup_id_z 0
		.amdhsa_system_sgpr_workgroup_info 0
		.amdhsa_system_vgpr_workitem_id 0
		.amdhsa_next_free_vgpr 25
		.amdhsa_next_free_sgpr 11
		.amdhsa_reserve_vcc 1
		.amdhsa_reserve_flat_scratch 0
		.amdhsa_float_round_mode_32 0
		.amdhsa_float_round_mode_16_64 0
		.amdhsa_float_denorm_mode_32 3
		.amdhsa_float_denorm_mode_16_64 3
		.amdhsa_dx10_clamp 1
		.amdhsa_ieee_mode 1
		.amdhsa_fp16_overflow 0
		.amdhsa_workgroup_processor_mode 1
		.amdhsa_memory_ordered 1
		.amdhsa_forward_progress 1
		.amdhsa_shared_vgpr_count 0
		.amdhsa_exception_fp_ieee_invalid_op 0
		.amdhsa_exception_fp_denorm_src 0
		.amdhsa_exception_fp_ieee_div_zero 0
		.amdhsa_exception_fp_ieee_overflow 0
		.amdhsa_exception_fp_ieee_underflow 0
		.amdhsa_exception_fp_ieee_inexact 0
		.amdhsa_exception_int_div_zero 0
	.end_amdhsa_kernel
	.section	.text._Z6kernelIfEvPSt7complexIT_ES3_S3_8CalcKind,"axG",@progbits,_Z6kernelIfEvPSt7complexIT_ES3_S3_8CalcKind,comdat
.Lfunc_end0:
	.size	_Z6kernelIfEvPSt7complexIT_ES3_S3_8CalcKind, .Lfunc_end0-_Z6kernelIfEvPSt7complexIT_ES3_S3_8CalcKind
                                        ; -- End function
	.set _Z6kernelIfEvPSt7complexIT_ES3_S3_8CalcKind.num_vgpr, 25
	.set _Z6kernelIfEvPSt7complexIT_ES3_S3_8CalcKind.num_agpr, 0
	.set _Z6kernelIfEvPSt7complexIT_ES3_S3_8CalcKind.numbered_sgpr, 11
	.set _Z6kernelIfEvPSt7complexIT_ES3_S3_8CalcKind.num_named_barrier, 0
	.set _Z6kernelIfEvPSt7complexIT_ES3_S3_8CalcKind.private_seg_size, 0
	.set _Z6kernelIfEvPSt7complexIT_ES3_S3_8CalcKind.uses_vcc, 1
	.set _Z6kernelIfEvPSt7complexIT_ES3_S3_8CalcKind.uses_flat_scratch, 0
	.set _Z6kernelIfEvPSt7complexIT_ES3_S3_8CalcKind.has_dyn_sized_stack, 0
	.set _Z6kernelIfEvPSt7complexIT_ES3_S3_8CalcKind.has_recursion, 0
	.set _Z6kernelIfEvPSt7complexIT_ES3_S3_8CalcKind.has_indirect_call, 0
	.section	.AMDGPU.csdata,"",@progbits
; Kernel info:
; codeLenInByte = 6804
; TotalNumSgprs: 13
; NumVgprs: 25
; ScratchSize: 0
; MemoryBound: 0
; FloatMode: 240
; IeeeMode: 1
; LDSByteSize: 0 bytes/workgroup (compile time only)
; SGPRBlocks: 0
; VGPRBlocks: 3
; NumSGPRsForWavesPerEU: 13
; NumVGPRsForWavesPerEU: 25
; Occupancy: 16
; WaveLimiterHint : 0
; COMPUTE_PGM_RSRC2:SCRATCH_EN: 0
; COMPUTE_PGM_RSRC2:USER_SGPR: 6
; COMPUTE_PGM_RSRC2:TRAP_HANDLER: 0
; COMPUTE_PGM_RSRC2:TGID_X_EN: 1
; COMPUTE_PGM_RSRC2:TGID_Y_EN: 0
; COMPUTE_PGM_RSRC2:TGID_Z_EN: 0
; COMPUTE_PGM_RSRC2:TIDIG_COMP_CNT: 0
	.section	.text._Z6kernelIdEvPSt7complexIT_ES3_S3_8CalcKind,"axG",@progbits,_Z6kernelIdEvPSt7complexIT_ES3_S3_8CalcKind,comdat
	.protected	_Z6kernelIdEvPSt7complexIT_ES3_S3_8CalcKind ; -- Begin function _Z6kernelIdEvPSt7complexIT_ES3_S3_8CalcKind
	.globl	_Z6kernelIdEvPSt7complexIT_ES3_S3_8CalcKind
	.p2align	8
	.type	_Z6kernelIdEvPSt7complexIT_ES3_S3_8CalcKind,@function
_Z6kernelIdEvPSt7complexIT_ES3_S3_8CalcKind: ; @_Z6kernelIdEvPSt7complexIT_ES3_S3_8CalcKind
; %bb.0:
	s_clause 0x1
	s_load_dword s0, s[4:5], 0x2c
	s_load_dwordx4 s[8:11], s[4:5], 0x0
	s_waitcnt lgkmcnt(0)
	s_and_b32 s0, s0, 0xffff
	v_mad_u64_u32 v[0:1], null, s6, s0, v[0:1]
	s_clause 0x1
	s_load_dwordx2 s[6:7], s[4:5], 0x10
	s_load_dword s4, s[4:5], 0x18
	v_ashrrev_i32_e32 v1, 31, v0
	v_lshlrev_b64 v[12:13], 4, v[0:1]
	v_add_co_u32 v0, vcc_lo, s8, v12
	v_add_co_ci_u32_e64 v1, null, s9, v13, vcc_lo
	s_waitcnt lgkmcnt(0)
	s_cmp_lt_i32 s4, 4
	global_load_dwordx4 v[0:3], v[0:1], off
	s_cbranch_scc1 .LBB1_6
; %bb.1:
	s_cmp_lt_i32 s4, 6
	s_cbranch_scc1 .LBB1_7
; %bb.2:
	s_cmp_lt_i32 s4, 7
	s_cbranch_scc1 .LBB1_9
; %bb.3:
	s_waitcnt vmcnt(0)
	v_mov_b32_e32 v7, v3
	v_mov_b32_e32 v5, v1
	;; [unrolled: 1-line block ×4, first 2 shown]
	s_cmp_eq_u32 s4, 7
	s_cbranch_scc0 .LBB1_10
; %bb.4:
	v_cmp_ngt_f64_e64 s0, 0x41d00000, |v[0:1]|
                                        ; implicit-def: $vgpr14
                                        ; implicit-def: $vgpr4_vgpr5
                                        ; implicit-def: $vgpr6_vgpr7
	s_and_saveexec_b32 s1, s0
	s_xor_b32 s1, exec_lo, s1
	s_cbranch_execz .LBB1_11
; %bb.5:
	v_ldexp_f64 v[4:5], |v[0:1]|, 0xffffff80
	v_cmp_le_f64_e64 vcc_lo, 0x7b000000, |v[0:1]|
	v_trig_preop_f64 v[6:7], |v[0:1]|, 0
	v_and_b32_e32 v8, 0x7fffffff, v1
	v_trig_preop_f64 v[20:21], |v[0:1]|, 2
	v_mov_b32_e32 v28, 0
	s_mov_b32 s2, 0x54442d18
	s_mov_b32 s3, 0x3ff921fb
	;; [unrolled: 1-line block ×4, first 2 shown]
	v_cndmask_b32_e32 v5, v8, v5, vcc_lo
	v_cndmask_b32_e32 v4, v0, v4, vcc_lo
	v_trig_preop_f64 v[8:9], |v[0:1]|, 1
	v_mul_f64 v[10:11], v[6:7], v[4:5]
	v_mul_f64 v[26:27], v[20:21], v[4:5]
	v_mul_f64 v[14:15], v[8:9], v[4:5]
	v_fma_f64 v[6:7], v[6:7], v[4:5], -v[10:11]
	v_fma_f64 v[8:9], v[8:9], v[4:5], -v[14:15]
	;; [unrolled: 1-line block ×3, first 2 shown]
	v_add_f64 v[16:17], v[14:15], v[6:7]
	v_add_f64 v[18:19], v[16:17], -v[14:15]
	v_add_f64 v[24:25], v[10:11], v[16:17]
	v_add_f64 v[22:23], v[16:17], -v[18:19]
	v_add_f64 v[6:7], v[6:7], -v[18:19]
	v_ldexp_f64 v[18:19], v[24:25], -2
	v_add_f64 v[10:11], v[24:25], -v[10:11]
	v_add_f64 v[14:15], v[14:15], -v[22:23]
	v_add_f64 v[22:23], v[26:27], v[8:9]
	v_cmp_neq_f64_e64 vcc_lo, 0x7ff00000, |v[18:19]|
	v_add_f64 v[10:11], v[16:17], -v[10:11]
	v_add_f64 v[6:7], v[6:7], v[14:15]
	v_fract_f64_e32 v[14:15], v[18:19]
	v_add_f64 v[16:17], v[22:23], v[6:7]
	v_ldexp_f64 v[14:15], v[14:15], 2
	v_add_f64 v[18:19], v[10:11], v[16:17]
	v_cndmask_b32_e32 v15, 0, v15, vcc_lo
	v_cndmask_b32_e32 v14, 0, v14, vcc_lo
	v_add_f64 v[24:25], v[18:19], v[14:15]
	v_add_f64 v[10:11], v[18:19], -v[10:11]
	v_cmp_gt_f64_e32 vcc_lo, 0, v[24:25]
	v_add_f64 v[24:25], v[22:23], -v[26:27]
	v_add_f64 v[10:11], v[16:17], -v[10:11]
	v_cndmask_b32_e64 v29, 0, 0x40100000, vcc_lo
	v_add_f64 v[33:34], v[22:23], -v[24:25]
	v_add_f64 v[8:9], v[8:9], -v[24:25]
	v_add_f64 v[14:15], v[14:15], v[28:29]
	v_add_f64 v[29:30], v[16:17], -v[22:23]
	v_add_f64 v[24:25], v[26:27], -v[33:34]
	v_add_f64 v[31:32], v[18:19], v[14:15]
	;; [unrolled: 3-line block ×3, first 2 shown]
	v_cvt_i32_f64_e32 v31, v[31:32]
	v_add_f64 v[22:23], v[22:23], -v[35:36]
	v_cvt_f64_i32_e32 v[29:30], v31
	v_add_f64 v[6:7], v[6:7], v[22:23]
	v_add_f64 v[14:15], v[14:15], -v[29:30]
	v_add_f64 v[6:7], v[8:9], v[6:7]
	v_add_f64 v[8:9], v[18:19], v[14:15]
	;; [unrolled: 1-line block ×3, first 2 shown]
	v_add_f64 v[6:7], v[8:9], -v[14:15]
	v_cmp_le_f64_e32 vcc_lo, 0.5, v[8:9]
	v_add_f64 v[4:5], v[10:11], v[4:5]
	v_add_f64 v[6:7], v[18:19], -v[6:7]
	v_cndmask_b32_e64 v29, 0, 0x3ff00000, vcc_lo
	v_add_co_ci_u32_e64 v14, null, 0, v31, vcc_lo
	v_add_f64 v[4:5], v[4:5], v[6:7]
	v_add_f64 v[6:7], v[8:9], -v[28:29]
	v_add_f64 v[8:9], v[6:7], v[4:5]
	v_mul_f64 v[10:11], v[8:9], s[2:3]
	v_add_f64 v[6:7], v[8:9], -v[6:7]
	v_fma_f64 v[15:16], v[8:9], s[2:3], -v[10:11]
	v_add_f64 v[4:5], v[4:5], -v[6:7]
	v_fma_f64 v[6:7], v[8:9], s[8:9], v[15:16]
	v_fma_f64 v[6:7], v[4:5], s[2:3], v[6:7]
	v_add_f64 v[4:5], v[10:11], v[6:7]
	v_add_f64 v[8:9], v[4:5], -v[10:11]
	v_add_f64 v[6:7], v[6:7], -v[8:9]
	s_andn2_saveexec_b32 s1, s1
	s_cbranch_execz .LBB1_13
	s_branch .LBB1_12
.LBB1_6:
                                        ; implicit-def: $vgpr6_vgpr7
	s_branch .LBB1_35
.LBB1_7:
                                        ; implicit-def: $vgpr6_vgpr7
	s_branch .LBB1_28
.LBB1_8:
	s_cbranch_execnz .LBB1_59
	s_branch .LBB1_35
.LBB1_9:
                                        ; implicit-def: $vgpr6_vgpr7
	s_branch .LBB1_18
.LBB1_10:
	s_cbranch_execnz .LBB1_27
	s_branch .LBB1_18
.LBB1_11:
	s_andn2_saveexec_b32 s1, s1
	s_cbranch_execz .LBB1_13
.LBB1_12:
	s_mov_b32 s2, 0x6dc9c883
	s_mov_b32 s3, 0x3fe45f30
	;; [unrolled: 1-line block ×3, first 2 shown]
	v_mul_f64 v[4:5], |v[0:1]|, s[2:3]
	s_mov_b32 s2, 0x54442d18
	s_mov_b32 s3, 0xbff921fb
	;; [unrolled: 1-line block ×3, first 2 shown]
	v_rndne_f64_e32 v[8:9], v[4:5]
	v_fma_f64 v[4:5], v[8:9], s[2:3], |v[0:1]|
	v_mul_f64 v[6:7], v[8:9], s[8:9]
	s_mov_b32 s2, 0x252049c0
	s_mov_b32 s3, 0xb97b839a
	v_fma_f64 v[14:15], v[8:9], s[8:9], v[4:5]
	v_add_f64 v[10:11], v[4:5], v[6:7]
	s_mov_b32 s9, 0x3c91a626
	v_add_f64 v[4:5], v[4:5], -v[10:11]
	v_add_f64 v[10:11], v[10:11], -v[14:15]
	v_add_f64 v[4:5], v[4:5], v[6:7]
	v_fma_f64 v[6:7], v[8:9], s[8:9], v[6:7]
	v_add_f64 v[4:5], v[10:11], v[4:5]
	v_add_f64 v[4:5], v[4:5], -v[6:7]
	v_fma_f64 v[6:7], v[8:9], s[2:3], v[4:5]
	v_add_f64 v[4:5], v[14:15], v[6:7]
	v_add_f64 v[10:11], v[4:5], -v[14:15]
	v_cvt_i32_f64_e32 v14, v[8:9]
	v_add_f64 v[6:7], v[6:7], -v[10:11]
.LBB1_13:
	s_or_b32 exec_lo, exec_lo, s1
                                        ; implicit-def: $vgpr15
                                        ; implicit-def: $vgpr8_vgpr9
                                        ; implicit-def: $vgpr10_vgpr11
	s_and_saveexec_b32 s1, s0
	s_xor_b32 s0, exec_lo, s1
	s_cbranch_execz .LBB1_15
; %bb.14:
	v_ldexp_f64 v[8:9], |v[0:1]|, 0xffffff80
	v_cmp_le_f64_e64 vcc_lo, 0x7b000000, |v[0:1]|
	v_trig_preop_f64 v[10:11], |v[0:1]|, 0
	v_and_b32_e32 v15, 0x7fffffff, v1
	v_trig_preop_f64 v[25:26], |v[0:1]|, 2
	v_mov_b32_e32 v33, 0
	s_mov_b32 s2, 0x54442d18
	s_mov_b32 s3, 0x3ff921fb
	;; [unrolled: 1-line block ×4, first 2 shown]
	v_cndmask_b32_e32 v9, v15, v9, vcc_lo
	v_cndmask_b32_e32 v8, v0, v8, vcc_lo
	v_trig_preop_f64 v[15:16], |v[0:1]|, 1
	v_mul_f64 v[17:18], v[10:11], v[8:9]
	v_mul_f64 v[31:32], v[25:26], v[8:9]
	;; [unrolled: 1-line block ×3, first 2 shown]
	v_fma_f64 v[10:11], v[10:11], v[8:9], -v[17:18]
	v_fma_f64 v[15:16], v[15:16], v[8:9], -v[19:20]
	;; [unrolled: 1-line block ×3, first 2 shown]
	v_add_f64 v[21:22], v[19:20], v[10:11]
	v_add_f64 v[23:24], v[21:22], -v[19:20]
	v_add_f64 v[29:30], v[17:18], v[21:22]
	v_add_f64 v[27:28], v[21:22], -v[23:24]
	v_add_f64 v[10:11], v[10:11], -v[23:24]
	v_ldexp_f64 v[23:24], v[29:30], -2
	v_add_f64 v[17:18], v[29:30], -v[17:18]
	v_add_f64 v[19:20], v[19:20], -v[27:28]
	v_add_f64 v[27:28], v[31:32], v[15:16]
	v_cmp_neq_f64_e64 vcc_lo, 0x7ff00000, |v[23:24]|
	v_add_f64 v[17:18], v[21:22], -v[17:18]
	v_add_f64 v[10:11], v[10:11], v[19:20]
	v_fract_f64_e32 v[19:20], v[23:24]
	v_add_f64 v[21:22], v[27:28], v[10:11]
	v_ldexp_f64 v[19:20], v[19:20], 2
	v_add_f64 v[23:24], v[17:18], v[21:22]
	v_cndmask_b32_e32 v20, 0, v20, vcc_lo
	v_cndmask_b32_e32 v19, 0, v19, vcc_lo
	v_add_f64 v[29:30], v[23:24], v[19:20]
	v_add_f64 v[17:18], v[23:24], -v[17:18]
	v_cmp_gt_f64_e32 vcc_lo, 0, v[29:30]
	v_add_f64 v[29:30], v[27:28], -v[31:32]
	v_cndmask_b32_e64 v34, 0, 0x40100000, vcc_lo
	v_add_f64 v[38:39], v[27:28], -v[29:30]
	v_add_f64 v[15:16], v[15:16], -v[29:30]
	v_add_f64 v[19:20], v[19:20], v[33:34]
	v_add_f64 v[34:35], v[21:22], -v[27:28]
	v_add_f64 v[29:30], v[31:32], -v[38:39]
	v_add_f64 v[36:37], v[23:24], v[19:20]
	;; [unrolled: 3-line block ×3, first 2 shown]
	v_cvt_i32_f64_e32 v36, v[36:37]
	v_add_f64 v[27:28], v[27:28], -v[40:41]
	v_cvt_f64_i32_e32 v[34:35], v36
	v_add_f64 v[10:11], v[10:11], v[27:28]
	v_add_f64 v[19:20], v[19:20], -v[34:35]
	v_add_f64 v[10:11], v[15:16], v[10:11]
	v_add_f64 v[15:16], v[21:22], -v[17:18]
	v_add_f64 v[25:26], v[23:24], v[19:20]
	v_add_f64 v[8:9], v[8:9], v[10:11]
	v_add_f64 v[10:11], v[25:26], -v[19:20]
	v_cmp_le_f64_e32 vcc_lo, 0.5, v[25:26]
	v_add_f64 v[8:9], v[15:16], v[8:9]
	v_add_f64 v[10:11], v[23:24], -v[10:11]
	v_cndmask_b32_e64 v34, 0, 0x3ff00000, vcc_lo
	v_add_co_ci_u32_e64 v15, null, 0, v36, vcc_lo
	v_add_f64 v[8:9], v[8:9], v[10:11]
	v_add_f64 v[10:11], v[25:26], -v[33:34]
	v_add_f64 v[16:17], v[10:11], v[8:9]
	v_mul_f64 v[18:19], v[16:17], s[2:3]
	v_add_f64 v[10:11], v[16:17], -v[10:11]
	v_fma_f64 v[20:21], v[16:17], s[2:3], -v[18:19]
	v_add_f64 v[8:9], v[8:9], -v[10:11]
	v_fma_f64 v[10:11], v[16:17], s[8:9], v[20:21]
	v_fma_f64 v[10:11], v[8:9], s[2:3], v[10:11]
	v_add_f64 v[8:9], v[18:19], v[10:11]
	v_add_f64 v[16:17], v[8:9], -v[18:19]
	v_add_f64 v[10:11], v[10:11], -v[16:17]
	s_andn2_saveexec_b32 s0, s0
	s_cbranch_execnz .LBB1_16
	s_branch .LBB1_17
.LBB1_15:
	s_andn2_saveexec_b32 s0, s0
	s_cbranch_execz .LBB1_17
.LBB1_16:
	s_mov_b32 s2, 0x6dc9c883
	s_mov_b32 s3, 0x3fe45f30
	;; [unrolled: 1-line block ×3, first 2 shown]
	v_mul_f64 v[8:9], |v[0:1]|, s[2:3]
	s_mov_b32 s2, 0x54442d18
	s_mov_b32 s3, 0xbff921fb
	;; [unrolled: 1-line block ×3, first 2 shown]
	v_rndne_f64_e32 v[15:16], v[8:9]
	v_fma_f64 v[8:9], v[15:16], s[2:3], |v[0:1]|
	v_mul_f64 v[10:11], v[15:16], s[8:9]
	s_mov_b32 s2, 0x252049c0
	s_mov_b32 s3, 0xb97b839a
	v_fma_f64 v[19:20], v[15:16], s[8:9], v[8:9]
	v_add_f64 v[17:18], v[8:9], v[10:11]
	s_mov_b32 s9, 0x3c91a626
	v_add_f64 v[8:9], v[8:9], -v[17:18]
	v_add_f64 v[17:18], v[17:18], -v[19:20]
	v_add_f64 v[8:9], v[8:9], v[10:11]
	v_fma_f64 v[10:11], v[15:16], s[8:9], v[10:11]
	v_add_f64 v[8:9], v[17:18], v[8:9]
	v_add_f64 v[8:9], v[8:9], -v[10:11]
	v_fma_f64 v[10:11], v[15:16], s[2:3], v[8:9]
	v_cvt_i32_f64_e32 v15, v[15:16]
	v_add_f64 v[8:9], v[19:20], v[10:11]
	v_add_f64 v[17:18], v[8:9], -v[19:20]
	v_add_f64 v[10:11], v[10:11], -v[17:18]
.LBB1_17:
	s_or_b32 exec_lo, exec_lo, s0
	s_mov_b32 s1, 0xbfe62e42
	s_mov_b32 s0, 0xfefa39ef
	;; [unrolled: 1-line block ×3, first 2 shown]
	v_add_f64 v[16:17], |v[2:3]|, s[0:1]
	s_mov_b32 s2, s0
	s_mov_b32 s0, 0xfefa3000
	s_mov_b32 s8, 0x555502a1
	s_mov_b32 s12, 0xf9a43bb8
	s_mov_b32 s13, 0x3de5e0b2
	s_mov_b32 s18, 0x796cde01
	s_mov_b32 s19, 0x3ec71de3
	s_mov_b32 s14, 0x9037ab78
	s_mov_b32 s16, 0x46cc5e42
	s_mov_b32 s15, 0x3e21eeb6
	s_mov_b32 s17, 0xbda907db
	v_mul_f64 v[46:47], v[6:7], 0.5
	v_mul_f64 v[56:57], v[10:11], 0.5
	v_add_f64 v[18:19], v[16:17], -|v[2:3]|
	v_add_f64 v[20:21], v[18:19], -v[16:17]
	v_add_f64 v[18:19], v[18:19], s[2:3]
	s_mov_b32 s2, 0x3b39803f
	s_mov_b32 s3, 0xbc7abc9e
	v_add_f64 v[20:21], |v[2:3]|, v[20:21]
	v_add_f64 v[18:19], v[20:21], -v[18:19]
	v_add_f64 v[18:19], v[18:19], s[2:3]
	s_mov_b32 s2, 0x652b82fe
	s_mov_b32 s3, 0x3ff71547
	v_add_f64 v[20:21], v[16:17], v[18:19]
	v_mul_f64 v[22:23], v[20:21], s[2:3]
	v_add_f64 v[16:17], v[16:17], -v[20:21]
	s_mov_b32 s2, 0x6a5dcb37
	s_mov_b32 s3, 0x3e5ade15
	v_rndne_f64_e32 v[22:23], v[22:23]
	v_add_f64 v[16:17], v[18:19], v[16:17]
	v_fma_f64 v[18:19], v[22:23], s[0:1], v[20:21]
	s_mov_b32 s0, 0xf278e000
	s_mov_b32 s1, 0xbd53de6a
	v_mul_f64 v[20:21], v[22:23], s[0:1]
	s_mov_b32 s0, 0xf97b57a0
	s_mov_b32 s1, 0xbac9cc01
	v_add_f64 v[24:25], v[16:17], v[18:19]
	v_add_f64 v[26:27], v[24:25], v[20:21]
	v_add_f64 v[18:19], v[18:19], -v[24:25]
	v_add_f64 v[24:25], v[24:25], -v[26:27]
	v_add_f64 v[16:17], v[16:17], v[18:19]
	v_add_f64 v[18:19], v[24:25], v[20:21]
	;; [unrolled: 1-line block ×3, first 2 shown]
	v_mul_f64 v[18:19], v[22:23], s[0:1]
	s_mov_b32 s0, 0xfca7ab0c
	s_mov_b32 s1, 0x3e928af3
	v_add_f64 v[20:21], v[26:27], v[16:17]
	v_add_f64 v[24:25], v[20:21], v[18:19]
	v_add_f64 v[26:27], v[26:27], -v[20:21]
	v_add_f64 v[20:21], v[20:21], -v[24:25]
	v_add_f64 v[16:17], v[16:17], v[26:27]
	v_add_f64 v[18:19], v[20:21], v[18:19]
	;; [unrolled: 1-line block ×4, first 2 shown]
	v_fma_f64 v[20:21], v[18:19], s[2:3], s[0:1]
	s_mov_b32 s0, 0x623fde64
	s_mov_b32 s1, 0x3ec71dee
	v_add_f64 v[24:25], v[24:25], -v[18:19]
	s_mov_b32 s2, 0x11110bb3
	s_mov_b32 s3, 0x3f811111
	v_mul_f64 v[26:27], v[18:19], v[18:19]
	v_fma_f64 v[20:21], v[18:19], v[20:21], s[0:1]
	s_mov_b32 s0, 0x7c89e6b0
	s_mov_b32 s1, 0x3efa0199
	v_add_f64 v[16:17], v[16:17], v[24:25]
	v_fma_f64 v[24:25], v[18:19], v[18:19], -v[26:27]
	v_fma_f64 v[20:21], v[18:19], v[20:21], s[0:1]
	s_mov_b32 s0, 0x14761f6e
	s_mov_b32 s1, 0x3f2a01a0
	v_add_f64 v[28:29], v[16:17], v[16:17]
	v_fma_f64 v[20:21], v[18:19], v[20:21], s[0:1]
	s_mov_b32 s0, 0x1852b7b0
	s_mov_b32 s1, 0x3f56c16c
	v_fma_f64 v[24:25], v[18:19], v[28:29], v[24:25]
	v_fma_f64 v[20:21], v[18:19], v[20:21], s[0:1]
	s_mov_b32 s0, 0x11122322
	s_mov_b32 s1, s3
	v_add_f64 v[28:29], v[26:27], v[24:25]
	v_fma_f64 v[20:21], v[18:19], v[20:21], s[0:1]
	s_mov_b32 s0, 0x55555555
	s_mov_b32 s1, 0x3fa55555
	v_add_f64 v[26:27], v[28:29], -v[26:27]
	s_mov_b32 s9, s1
	v_fma_f64 v[20:21], v[18:19], v[20:21], s[8:9]
	s_mov_b32 s8, 0x55555511
	s_mov_b32 s9, 0x3fc55555
	v_add_f64 v[24:25], v[24:25], -v[26:27]
	v_fma_f64 v[20:21], v[18:19], v[20:21], s[8:9]
	s_mov_b32 s8, 11
	s_mov_b32 s9, 0x3fe00000
	v_fma_f64 v[20:21], v[18:19], v[20:21], s[8:9]
	s_mov_b32 s8, 0xb42fdfa7
	s_mov_b32 s9, 0xbe5ae600
	v_mul_f64 v[30:31], v[28:29], v[20:21]
	v_fma_f64 v[26:27], v[28:29], v[20:21], -v[30:31]
	v_fma_f64 v[20:21], v[24:25], v[20:21], v[26:27]
	v_add_f64 v[24:25], v[30:31], v[20:21]
	v_add_f64 v[26:27], v[24:25], -v[30:31]
	v_add_f64 v[28:29], v[18:19], v[24:25]
	v_add_f64 v[20:21], v[20:21], -v[26:27]
	v_add_f64 v[18:19], v[28:29], -v[18:19]
	v_add_f64 v[16:17], v[16:17], v[20:21]
	v_add_f64 v[18:19], v[24:25], -v[18:19]
	v_add_f64 v[16:17], v[16:17], v[18:19]
	v_add_f64 v[18:19], v[28:29], v[16:17]
	v_add_f64 v[20:21], v[18:19], 1.0
	v_add_f64 v[24:25], v[18:19], -v[28:29]
	v_cvt_i32_f64_e32 v28, v[22:23]
	v_add_f64 v[26:27], v[20:21], -1.0
	v_add_f64 v[16:17], v[16:17], -v[24:25]
	v_add_f64 v[18:19], v[18:19], -v[26:27]
	v_add_f64 v[16:17], v[16:17], v[18:19]
	v_add_f64 v[18:19], v[20:21], v[16:17]
	v_ldexp_f64 v[22:23], v[18:19], v28
	v_add_f64 v[18:19], v[18:19], -v[20:21]
	v_rcp_f64_e32 v[24:25], v[22:23]
	v_add_f64 v[16:17], v[16:17], -v[18:19]
	v_ldexp_f64 v[16:17], v[16:17], v28
	v_fma_f64 v[26:27], -v[22:23], v[24:25], 1.0
	v_fma_f64 v[24:25], v[26:27], v[24:25], v[24:25]
	v_fma_f64 v[26:27], -v[22:23], v[24:25], 1.0
	v_fma_f64 v[20:21], v[26:27], v[24:25], v[24:25]
	v_mul_f64 v[18:19], v[22:23], v[20:21]
	v_fma_f64 v[24:25], v[20:21], v[22:23], -v[18:19]
	v_fma_f64 v[24:25], v[20:21], v[16:17], v[24:25]
	v_add_f64 v[26:27], v[18:19], v[24:25]
	v_add_f64 v[28:29], -v[26:27], 1.0
	v_add_f64 v[18:19], v[26:27], -v[18:19]
	v_add_f64 v[30:31], -v[28:29], 1.0
	v_add_f64 v[18:19], v[18:19], -v[24:25]
	v_add_f64 v[24:25], v[30:31], -v[26:27]
	v_add_f64 v[18:19], v[18:19], v[24:25]
	v_add_f64 v[24:25], v[28:29], v[18:19]
	v_mul_f64 v[26:27], v[20:21], v[24:25]
	v_add_f64 v[28:29], v[28:29], -v[24:25]
	v_mul_f64 v[30:31], v[22:23], v[26:27]
	v_add_f64 v[18:19], v[18:19], v[28:29]
	v_fma_f64 v[32:33], v[26:27], v[22:23], -v[30:31]
	v_fma_f64 v[32:33], v[26:27], v[16:17], v[32:33]
	v_add_f64 v[34:35], v[30:31], v[32:33]
	v_add_f64 v[36:37], v[24:25], -v[34:35]
	v_add_f64 v[28:29], v[34:35], -v[30:31]
	;; [unrolled: 1-line block ×5, first 2 shown]
	v_add_f64 v[18:19], v[18:19], v[24:25]
	v_add_f64 v[24:25], v[20:21], v[26:27]
	;; [unrolled: 1-line block ×3, first 2 shown]
	v_add_f64 v[28:29], v[24:25], -v[20:21]
	v_add_f64 v[18:19], v[36:37], v[18:19]
	v_add_f64 v[26:27], v[26:27], -v[28:29]
	v_mul_f64 v[18:19], v[20:21], v[18:19]
	v_mul_f64 v[20:21], v[4:5], v[4:5]
	v_add_f64 v[18:19], v[26:27], v[18:19]
	v_mul_f64 v[26:27], v[8:9], v[8:9]
	v_fma_f64 v[28:29], v[20:21], s[12:13], s[8:9]
	v_mul_f64 v[36:37], v[20:21], 0.5
	v_fma_f64 v[34:35], v[20:21], s[16:17], s[14:15]
	v_mul_f64 v[50:51], v[4:5], -v[20:21]
	v_add_f64 v[30:31], v[24:25], v[18:19]
	v_fma_f64 v[32:33], v[26:27], s[12:13], s[8:9]
	v_fma_f64 v[28:29], v[20:21], v[28:29], s[18:19]
	;; [unrolled: 1-line block ×3, first 2 shown]
	v_mul_f64 v[42:43], v[26:27], 0.5
	s_mov_b32 s12, 0x19e83e5c
	s_mov_b32 s13, 0xbf2a01a0
	v_add_f64 v[44:45], -v[36:37], 1.0
	s_mov_b32 s8, 0xa17f65f6
	s_mov_b32 s9, 0xbe927e4f
	;; [unrolled: 1-line block ×3, first 2 shown]
	v_fma_f64 v[34:35], v[20:21], v[34:35], s[8:9]
	s_mov_b32 s15, 0x3efa01a0
	v_mul_f64 v[58:59], v[8:9], -v[26:27]
	v_ldexp_f64 v[38:39], v[30:31], -2
	v_fma_f64 v[32:33], v[26:27], v[32:33], s[18:19]
	v_fma_f64 v[28:29], v[20:21], v[28:29], s[12:13]
	v_add_f64 v[24:25], v[30:31], -v[24:25]
	v_fma_f64 v[40:41], v[26:27], v[40:41], s[8:9]
	v_add_f64 v[48:49], -v[42:43], 1.0
	s_mov_b32 s8, 0x16c16967
	v_add_f64 v[52:53], -v[44:45], 1.0
	s_mov_b32 s9, 0xbf56c16c
	v_fma_f64 v[34:35], v[20:21], v[34:35], s[14:15]
	v_add_f64 v[30:31], v[22:23], -v[38:39]
	v_fma_f64 v[32:33], v[26:27], v[32:33], s[12:13]
	v_fma_f64 v[28:29], v[20:21], v[28:29], s[2:3]
	v_add_f64 v[18:19], v[18:19], -v[24:25]
	v_add_f64 v[24:25], v[22:23], v[38:39]
	v_fma_f64 v[40:41], v[26:27], v[40:41], s[14:15]
	v_add_f64 v[60:61], -v[48:49], 1.0
	v_add_f64 v[36:37], v[52:53], -v[36:37]
	v_mul_f64 v[52:53], v[20:21], v[20:21]
	v_fma_f64 v[34:35], v[20:21], v[34:35], s[8:9]
	v_add_f64 v[54:55], v[22:23], -v[30:31]
	v_fma_f64 v[32:33], v[26:27], v[32:33], s[2:3]
	v_fma_f64 v[28:29], v[50:51], v[28:29], v[46:47]
	v_ldexp_f64 v[18:19], v[18:19], -2
	v_add_f64 v[22:23], v[24:25], -v[22:23]
	v_fma_f64 v[40:41], v[26:27], v[40:41], s[8:9]
	v_add_f64 v[42:43], v[60:61], -v[42:43]
	v_fma_f64 v[36:37], v[4:5], -v[6:7], v[36:37]
	v_fma_f64 v[34:35], v[20:21], v[34:35], s[0:1]
	v_add_f64 v[46:47], v[54:55], -v[38:39]
	v_fma_f64 v[32:33], v[58:59], v[32:33], v[56:57]
	v_fma_f64 v[6:7], v[20:21], v[28:29], -v[6:7]
	v_add_f64 v[20:21], v[16:17], v[18:19]
	v_add_f64 v[22:23], v[38:39], -v[22:23]
	v_mul_f64 v[28:29], v[26:27], v[26:27]
	v_fma_f64 v[38:39], v[26:27], v[40:41], s[0:1]
	v_fma_f64 v[40:41], v[8:9], -v[10:11], v[42:43]
	s_mov_b32 s1, 0xbfc55555
	v_add_f64 v[16:17], v[16:17], v[46:47]
	v_fma_f64 v[10:11], v[26:27], v[32:33], -v[10:11]
	v_fma_f64 v[6:7], v[50:51], s[0:1], v[6:7]
	v_fma_f64 v[26:27], v[52:53], v[34:35], v[36:37]
	v_add_f64 v[20:21], v[20:21], v[22:23]
	v_add_f64 v[16:17], v[16:17], -v[18:19]
	v_fma_f64 v[18:19], v[28:29], v[38:39], v[40:41]
	v_fma_f64 v[10:11], v[58:59], s[0:1], v[10:11]
	v_add_f64 v[4:5], v[4:5], -v[6:7]
	s_mov_b32 s0, 0x8fb9f87e
	s_mov_b32 s1, 0x408633ce
	v_add_f64 v[22:23], v[44:45], v[26:27]
	v_cmp_ge_f64_e64 s3, |v[2:3]|, s[0:1]
	v_cmp_gt_f64_e64 s0, 0x3e400000, |v[2:3]|
	v_add_f64 v[6:7], v[24:25], v[20:21]
	v_cmp_class_f64_e64 s1, v[0:1], 0x1f8
	v_and_b32_e32 v20, 1, v14
	v_lshlrev_b32_e32 v14, 30, v14
	v_cmp_eq_u32_e32 vcc_lo, 0, v20
	v_and_b32_e32 v14, 0x80000000, v14
	v_add_f64 v[16:17], v[30:31], v[16:17]
	v_add_f64 v[18:19], v[48:49], v[18:19]
	v_add_f64 v[8:9], v[8:9], -v[10:11]
	v_and_b32_e32 v11, 1, v15
	v_lshlrev_b32_e32 v15, 30, v15
	v_xor_b32_e32 v5, 0x80000000, v5
	v_cndmask_b32_e32 v4, v4, v22, vcc_lo
	v_cmp_eq_u32_e64 s2, 0, v11
	v_xor_b32_e32 v11, v15, v1
	v_cndmask_b32_e32 v5, v5, v23, vcc_lo
	v_cndmask_b32_e64 v7, v7, 0x7ff00000, s3
	v_cndmask_b32_e64 v4, 0, v4, s1
	;; [unrolled: 1-line block ×3, first 2 shown]
	v_xor_b32_e32 v5, v5, v14
	v_cndmask_b32_e64 v5, 0x7ff80000, v5, s1
	v_cndmask_b32_e64 v10, v16, 0, s3
	;; [unrolled: 1-line block ×5, first 2 shown]
	v_and_b32_e32 v9, 0x80000000, v11
	v_and_b32_e32 v11, 0x7fffffff, v3
	v_mul_f64 v[4:5], v[6:7], v[4:5]
	v_xor_b32_e32 v9, v8, v9
	v_cndmask_b32_e64 v14, v16, v11, s0
	v_cndmask_b32_e64 v8, v10, v2, s0
	;; [unrolled: 1-line block ×4, first 2 shown]
	v_bfi_b32 v9, 0x7fffffff, v14, v3
	v_mul_f64 v[6:7], v[8:9], -v[10:11]
	s_cbranch_execnz .LBB1_27
.LBB1_18:
	s_waitcnt vmcnt(0)
	v_cmp_ngt_f64_e64 s0, 0x41d00000, |v[0:1]|
	v_trig_preop_f64 v[18:19], |v[0:1]|, 0
	v_trig_preop_f64 v[16:17], |v[0:1]|, 1
	v_ldexp_f64 v[20:21], |v[0:1]|, 0xffffff80
	v_trig_preop_f64 v[14:15], |v[0:1]|, 2
                                        ; implicit-def: $vgpr22
                                        ; implicit-def: $vgpr4_vgpr5
                                        ; implicit-def: $vgpr6_vgpr7
	s_and_saveexec_b32 s1, s0
	s_xor_b32 s1, exec_lo, s1
	s_cbranch_execz .LBB1_20
; %bb.19:
	v_cmp_le_f64_e64 vcc_lo, 0x7b000000, |v[0:1]|
	v_and_b32_e32 v4, 0x7fffffff, v1
	v_mov_b32_e32 v34, 0
	s_mov_b32 s2, 0x54442d18
	s_mov_b32 s3, 0x3ff921fb
	;; [unrolled: 1-line block ×4, first 2 shown]
	v_cndmask_b32_e32 v5, v4, v21, vcc_lo
	v_cndmask_b32_e32 v4, v0, v20, vcc_lo
	v_mul_f64 v[6:7], v[18:19], v[4:5]
	v_mul_f64 v[8:9], v[16:17], v[4:5]
	;; [unrolled: 1-line block ×3, first 2 shown]
	v_fma_f64 v[10:11], v[18:19], v[4:5], -v[6:7]
	v_fma_f64 v[32:33], v[16:17], v[4:5], -v[8:9]
	;; [unrolled: 1-line block ×3, first 2 shown]
	v_add_f64 v[22:23], v[8:9], v[10:11]
	v_add_f64 v[24:25], v[22:23], -v[8:9]
	v_add_f64 v[28:29], v[6:7], v[22:23]
	v_add_f64 v[26:27], v[22:23], -v[24:25]
	v_add_f64 v[10:11], v[10:11], -v[24:25]
	v_ldexp_f64 v[24:25], v[28:29], -2
	v_add_f64 v[6:7], v[28:29], -v[6:7]
	v_add_f64 v[8:9], v[8:9], -v[26:27]
	v_add_f64 v[26:27], v[30:31], v[32:33]
	v_cmp_neq_f64_e64 vcc_lo, 0x7ff00000, |v[24:25]|
	v_add_f64 v[6:7], v[22:23], -v[6:7]
	v_add_f64 v[8:9], v[10:11], v[8:9]
	v_fract_f64_e32 v[10:11], v[24:25]
	v_add_f64 v[22:23], v[26:27], v[8:9]
	v_ldexp_f64 v[10:11], v[10:11], 2
	v_add_f64 v[24:25], v[6:7], v[22:23]
	v_cndmask_b32_e32 v11, 0, v11, vcc_lo
	v_cndmask_b32_e32 v10, 0, v10, vcc_lo
	v_add_f64 v[28:29], v[24:25], v[10:11]
	v_add_f64 v[6:7], v[24:25], -v[6:7]
	v_cmp_gt_f64_e32 vcc_lo, 0, v[28:29]
	v_add_f64 v[28:29], v[26:27], -v[30:31]
	v_add_f64 v[6:7], v[22:23], -v[6:7]
	v_cndmask_b32_e64 v35, 0, 0x40100000, vcc_lo
	v_add_f64 v[39:40], v[26:27], -v[28:29]
	v_add_f64 v[28:29], v[32:33], -v[28:29]
	v_add_f64 v[10:11], v[10:11], v[34:35]
	v_add_f64 v[35:36], v[22:23], -v[26:27]
	v_add_f64 v[32:33], v[30:31], -v[39:40]
	v_add_f64 v[37:38], v[24:25], v[10:11]
	;; [unrolled: 3-line block ×3, first 2 shown]
	v_cvt_i32_f64_e32 v37, v[37:38]
	v_add_f64 v[26:27], v[26:27], -v[41:42]
	v_cvt_f64_i32_e32 v[35:36], v37
	v_add_f64 v[8:9], v[8:9], v[26:27]
	v_add_f64 v[10:11], v[10:11], -v[35:36]
	v_add_f64 v[8:9], v[28:29], v[8:9]
	v_add_f64 v[26:27], v[24:25], v[10:11]
	;; [unrolled: 1-line block ×3, first 2 shown]
	v_add_f64 v[8:9], v[26:27], -v[10:11]
	v_cmp_le_f64_e32 vcc_lo, 0.5, v[26:27]
	v_add_f64 v[4:5], v[6:7], v[4:5]
	v_add_f64 v[6:7], v[24:25], -v[8:9]
	v_cndmask_b32_e64 v35, 0, 0x3ff00000, vcc_lo
	v_add_co_ci_u32_e64 v22, null, 0, v37, vcc_lo
	v_add_f64 v[4:5], v[4:5], v[6:7]
	v_add_f64 v[6:7], v[26:27], -v[34:35]
	v_add_f64 v[8:9], v[6:7], v[4:5]
	v_mul_f64 v[10:11], v[8:9], s[2:3]
	v_add_f64 v[6:7], v[8:9], -v[6:7]
	v_fma_f64 v[23:24], v[8:9], s[2:3], -v[10:11]
	v_add_f64 v[4:5], v[4:5], -v[6:7]
	v_fma_f64 v[6:7], v[8:9], s[8:9], v[23:24]
	v_fma_f64 v[6:7], v[4:5], s[2:3], v[6:7]
	v_add_f64 v[4:5], v[10:11], v[6:7]
	v_add_f64 v[8:9], v[4:5], -v[10:11]
	v_add_f64 v[6:7], v[6:7], -v[8:9]
	s_andn2_saveexec_b32 s1, s1
	s_cbranch_execz .LBB1_22
	s_branch .LBB1_21
.LBB1_20:
	s_andn2_saveexec_b32 s1, s1
	s_cbranch_execz .LBB1_22
.LBB1_21:
	s_mov_b32 s2, 0x6dc9c883
	s_mov_b32 s3, 0x3fe45f30
	;; [unrolled: 1-line block ×3, first 2 shown]
	v_mul_f64 v[4:5], |v[0:1]|, s[2:3]
	s_mov_b32 s2, 0x54442d18
	s_mov_b32 s3, 0xbff921fb
	;; [unrolled: 1-line block ×3, first 2 shown]
	v_rndne_f64_e32 v[8:9], v[4:5]
	v_fma_f64 v[4:5], v[8:9], s[2:3], |v[0:1]|
	v_mul_f64 v[6:7], v[8:9], s[8:9]
	s_mov_b32 s2, 0x252049c0
	s_mov_b32 s3, 0xb97b839a
	v_fma_f64 v[22:23], v[8:9], s[8:9], v[4:5]
	v_add_f64 v[10:11], v[4:5], v[6:7]
	s_mov_b32 s9, 0x3c91a626
	v_add_f64 v[4:5], v[4:5], -v[10:11]
	v_add_f64 v[10:11], v[10:11], -v[22:23]
	v_add_f64 v[4:5], v[4:5], v[6:7]
	v_fma_f64 v[6:7], v[8:9], s[8:9], v[6:7]
	v_add_f64 v[4:5], v[10:11], v[4:5]
	v_add_f64 v[4:5], v[4:5], -v[6:7]
	v_fma_f64 v[6:7], v[8:9], s[2:3], v[4:5]
	v_add_f64 v[4:5], v[22:23], v[6:7]
	v_add_f64 v[10:11], v[4:5], -v[22:23]
	v_cvt_i32_f64_e32 v22, v[8:9]
	v_add_f64 v[6:7], v[6:7], -v[10:11]
.LBB1_22:
	s_or_b32 exec_lo, exec_lo, s1
                                        ; implicit-def: $vgpr23
                                        ; implicit-def: $vgpr8_vgpr9
                                        ; implicit-def: $vgpr10_vgpr11
	s_and_saveexec_b32 s1, s0
	s_xor_b32 s0, exec_lo, s1
	s_cbranch_execz .LBB1_24
; %bb.23:
	v_cmp_le_f64_e64 vcc_lo, 0x7b000000, |v[0:1]|
	v_and_b32_e32 v8, 0x7fffffff, v1
	v_mov_b32_e32 v33, 0
	s_mov_b32 s2, 0x54442d18
	s_mov_b32 s3, 0x3ff921fb
	;; [unrolled: 1-line block ×4, first 2 shown]
	v_cndmask_b32_e32 v9, v8, v21, vcc_lo
	v_cndmask_b32_e32 v8, v0, v20, vcc_lo
	v_mul_f64 v[10:11], v[18:19], v[8:9]
	v_mul_f64 v[20:21], v[16:17], v[8:9]
	;; [unrolled: 1-line block ×3, first 2 shown]
	v_fma_f64 v[18:19], v[18:19], v[8:9], -v[10:11]
	v_fma_f64 v[16:17], v[16:17], v[8:9], -v[20:21]
	;; [unrolled: 1-line block ×3, first 2 shown]
	v_add_f64 v[23:24], v[20:21], v[18:19]
	v_add_f64 v[25:26], v[23:24], -v[20:21]
	v_add_f64 v[29:30], v[10:11], v[23:24]
	v_add_f64 v[27:28], v[23:24], -v[25:26]
	v_add_f64 v[18:19], v[18:19], -v[25:26]
	v_ldexp_f64 v[25:26], v[29:30], -2
	v_add_f64 v[10:11], v[29:30], -v[10:11]
	v_add_f64 v[20:21], v[20:21], -v[27:28]
	v_add_f64 v[27:28], v[31:32], v[16:17]
	v_cmp_neq_f64_e64 vcc_lo, 0x7ff00000, |v[25:26]|
	v_add_f64 v[10:11], v[23:24], -v[10:11]
	v_add_f64 v[18:19], v[18:19], v[20:21]
	v_fract_f64_e32 v[20:21], v[25:26]
	v_add_f64 v[23:24], v[27:28], v[18:19]
	v_ldexp_f64 v[20:21], v[20:21], 2
	v_add_f64 v[25:26], v[10:11], v[23:24]
	v_cndmask_b32_e32 v21, 0, v21, vcc_lo
	v_cndmask_b32_e32 v20, 0, v20, vcc_lo
	v_add_f64 v[29:30], v[25:26], v[20:21]
	v_add_f64 v[10:11], v[25:26], -v[10:11]
	v_cmp_gt_f64_e32 vcc_lo, 0, v[29:30]
	v_add_f64 v[29:30], v[27:28], -v[31:32]
	v_add_f64 v[10:11], v[23:24], -v[10:11]
	v_cndmask_b32_e64 v34, 0, 0x40100000, vcc_lo
	v_add_f64 v[38:39], v[27:28], -v[29:30]
	v_add_f64 v[16:17], v[16:17], -v[29:30]
	v_add_f64 v[20:21], v[20:21], v[33:34]
	v_add_f64 v[34:35], v[23:24], -v[27:28]
	v_add_f64 v[29:30], v[31:32], -v[38:39]
	v_add_f64 v[36:37], v[25:26], v[20:21]
	;; [unrolled: 3-line block ×3, first 2 shown]
	v_cvt_i32_f64_e32 v36, v[36:37]
	v_add_f64 v[27:28], v[27:28], -v[40:41]
	v_cvt_f64_i32_e32 v[34:35], v36
	v_add_f64 v[18:19], v[18:19], v[27:28]
	v_add_f64 v[20:21], v[20:21], -v[34:35]
	v_add_f64 v[14:15], v[16:17], v[18:19]
	v_add_f64 v[16:17], v[25:26], v[20:21]
	;; [unrolled: 1-line block ×3, first 2 shown]
	v_add_f64 v[14:15], v[16:17], -v[20:21]
	v_cmp_le_f64_e32 vcc_lo, 0.5, v[16:17]
	v_add_f64 v[8:9], v[10:11], v[8:9]
	v_add_f64 v[10:11], v[25:26], -v[14:15]
	v_cndmask_b32_e64 v34, 0, 0x3ff00000, vcc_lo
	v_add_co_ci_u32_e64 v23, null, 0, v36, vcc_lo
	v_add_f64 v[8:9], v[8:9], v[10:11]
	v_add_f64 v[10:11], v[16:17], -v[33:34]
	v_add_f64 v[14:15], v[10:11], v[8:9]
	v_mul_f64 v[16:17], v[14:15], s[2:3]
	v_add_f64 v[10:11], v[14:15], -v[10:11]
	v_fma_f64 v[18:19], v[14:15], s[2:3], -v[16:17]
	v_add_f64 v[8:9], v[8:9], -v[10:11]
	v_fma_f64 v[10:11], v[14:15], s[8:9], v[18:19]
	v_fma_f64 v[10:11], v[8:9], s[2:3], v[10:11]
	v_add_f64 v[8:9], v[16:17], v[10:11]
	v_add_f64 v[14:15], v[8:9], -v[16:17]
	v_add_f64 v[10:11], v[10:11], -v[14:15]
	s_andn2_saveexec_b32 s0, s0
	s_cbranch_execnz .LBB1_25
	s_branch .LBB1_26
.LBB1_24:
	s_andn2_saveexec_b32 s0, s0
	s_cbranch_execz .LBB1_26
.LBB1_25:
	s_mov_b32 s2, 0x6dc9c883
	s_mov_b32 s3, 0x3fe45f30
	;; [unrolled: 1-line block ×3, first 2 shown]
	v_mul_f64 v[8:9], |v[0:1]|, s[2:3]
	s_mov_b32 s2, 0x54442d18
	s_mov_b32 s3, 0xbff921fb
	;; [unrolled: 1-line block ×3, first 2 shown]
	v_rndne_f64_e32 v[14:15], v[8:9]
	v_fma_f64 v[8:9], v[14:15], s[2:3], |v[0:1]|
	v_mul_f64 v[10:11], v[14:15], s[8:9]
	s_mov_b32 s2, 0x252049c0
	s_mov_b32 s3, 0xb97b839a
	v_cvt_i32_f64_e32 v23, v[14:15]
	v_fma_f64 v[18:19], v[14:15], s[8:9], v[8:9]
	v_add_f64 v[16:17], v[8:9], v[10:11]
	s_mov_b32 s9, 0x3c91a626
	v_add_f64 v[8:9], v[8:9], -v[16:17]
	v_add_f64 v[16:17], v[16:17], -v[18:19]
	v_add_f64 v[8:9], v[8:9], v[10:11]
	v_fma_f64 v[10:11], v[14:15], s[8:9], v[10:11]
	v_add_f64 v[8:9], v[16:17], v[8:9]
	v_add_f64 v[8:9], v[8:9], -v[10:11]
	v_fma_f64 v[10:11], v[14:15], s[2:3], v[8:9]
	v_add_f64 v[8:9], v[18:19], v[10:11]
	v_add_f64 v[16:17], v[8:9], -v[18:19]
	v_add_f64 v[10:11], v[10:11], -v[16:17]
.LBB1_26:
	s_or_b32 exec_lo, exec_lo, s0
	s_mov_b32 s1, 0xbfe62e42
	s_mov_b32 s0, 0xfefa39ef
	;; [unrolled: 1-line block ×3, first 2 shown]
	v_add_f64 v[14:15], |v[2:3]|, s[0:1]
	s_mov_b32 s2, s0
	s_mov_b32 s0, 0xfefa3000
	;; [unrolled: 1-line block ×9, first 2 shown]
	v_mul_f64 v[46:47], v[6:7], 0.5
	v_mul_f64 v[56:57], v[10:11], 0.5
	v_add_f64 v[16:17], v[14:15], -|v[2:3]|
	v_add_f64 v[18:19], v[16:17], -v[14:15]
	v_add_f64 v[16:17], v[16:17], s[2:3]
	s_mov_b32 s2, 0x3b39803f
	s_mov_b32 s3, 0xbc7abc9e
	v_add_f64 v[18:19], |v[2:3]|, v[18:19]
	v_add_f64 v[16:17], v[18:19], -v[16:17]
	v_add_f64 v[16:17], v[16:17], s[2:3]
	s_mov_b32 s2, 0x652b82fe
	s_mov_b32 s3, 0x3ff71547
	v_add_f64 v[18:19], v[14:15], v[16:17]
	v_mul_f64 v[20:21], v[18:19], s[2:3]
	v_add_f64 v[14:15], v[14:15], -v[18:19]
	s_mov_b32 s2, 0x6a5dcb37
	s_mov_b32 s3, 0x3e5ade15
	v_rndne_f64_e32 v[20:21], v[20:21]
	v_add_f64 v[14:15], v[16:17], v[14:15]
	v_fma_f64 v[16:17], v[20:21], s[0:1], v[18:19]
	s_mov_b32 s0, 0xf278e000
	s_mov_b32 s1, 0xbd53de6a
	v_mul_f64 v[18:19], v[20:21], s[0:1]
	s_mov_b32 s0, 0xf97b57a0
	s_mov_b32 s1, 0xbac9cc01
	v_add_f64 v[24:25], v[14:15], v[16:17]
	v_add_f64 v[26:27], v[24:25], v[18:19]
	v_add_f64 v[16:17], v[16:17], -v[24:25]
	v_add_f64 v[24:25], v[24:25], -v[26:27]
	v_add_f64 v[14:15], v[14:15], v[16:17]
	v_add_f64 v[16:17], v[24:25], v[18:19]
	;; [unrolled: 1-line block ×3, first 2 shown]
	v_mul_f64 v[16:17], v[20:21], s[0:1]
	s_mov_b32 s0, 0xfca7ab0c
	s_mov_b32 s1, 0x3e928af3
	v_add_f64 v[18:19], v[26:27], v[14:15]
	v_add_f64 v[24:25], v[18:19], v[16:17]
	v_add_f64 v[26:27], v[26:27], -v[18:19]
	v_add_f64 v[18:19], v[18:19], -v[24:25]
	v_add_f64 v[14:15], v[14:15], v[26:27]
	v_add_f64 v[16:17], v[18:19], v[16:17]
	;; [unrolled: 1-line block ×4, first 2 shown]
	v_fma_f64 v[18:19], v[16:17], s[2:3], s[0:1]
	s_mov_b32 s0, 0x623fde64
	s_mov_b32 s1, 0x3ec71dee
	v_add_f64 v[24:25], v[24:25], -v[16:17]
	s_mov_b32 s2, 0x11110bb3
	s_mov_b32 s3, 0x3f811111
	v_mul_f64 v[26:27], v[16:17], v[16:17]
	v_fma_f64 v[18:19], v[16:17], v[18:19], s[0:1]
	s_mov_b32 s0, 0x7c89e6b0
	s_mov_b32 s1, 0x3efa0199
	v_add_f64 v[14:15], v[14:15], v[24:25]
	v_fma_f64 v[24:25], v[16:17], v[16:17], -v[26:27]
	v_fma_f64 v[18:19], v[16:17], v[18:19], s[0:1]
	s_mov_b32 s0, 0x14761f6e
	s_mov_b32 s1, 0x3f2a01a0
	v_add_f64 v[28:29], v[14:15], v[14:15]
	v_fma_f64 v[18:19], v[16:17], v[18:19], s[0:1]
	s_mov_b32 s0, 0x1852b7b0
	s_mov_b32 s1, 0x3f56c16c
	v_fma_f64 v[24:25], v[16:17], v[28:29], v[24:25]
	v_fma_f64 v[18:19], v[16:17], v[18:19], s[0:1]
	s_mov_b32 s0, 0x11122322
	s_mov_b32 s1, s3
	v_add_f64 v[28:29], v[26:27], v[24:25]
	v_fma_f64 v[18:19], v[16:17], v[18:19], s[0:1]
	s_mov_b32 s1, 0x3fa55555
	s_mov_b32 s9, s1
	v_add_f64 v[26:27], v[28:29], -v[26:27]
	v_fma_f64 v[18:19], v[16:17], v[18:19], s[8:9]
	s_mov_b32 s8, 0x55555511
	s_mov_b32 s9, 0x3fc55555
	v_add_f64 v[24:25], v[24:25], -v[26:27]
	v_fma_f64 v[18:19], v[16:17], v[18:19], s[8:9]
	s_mov_b32 s8, 11
	s_mov_b32 s9, 0x3fe00000
	v_fma_f64 v[18:19], v[16:17], v[18:19], s[8:9]
	s_mov_b32 s8, 0xb42fdfa7
	s_mov_b32 s9, 0xbe5ae600
	v_mul_f64 v[30:31], v[28:29], v[18:19]
	v_fma_f64 v[26:27], v[28:29], v[18:19], -v[30:31]
	v_fma_f64 v[18:19], v[24:25], v[18:19], v[26:27]
	v_add_f64 v[24:25], v[30:31], v[18:19]
	v_add_f64 v[26:27], v[24:25], -v[30:31]
	v_add_f64 v[28:29], v[16:17], v[24:25]
	v_add_f64 v[18:19], v[18:19], -v[26:27]
	v_add_f64 v[16:17], v[28:29], -v[16:17]
	v_add_f64 v[14:15], v[14:15], v[18:19]
	v_add_f64 v[16:17], v[24:25], -v[16:17]
	v_add_f64 v[14:15], v[14:15], v[16:17]
	v_add_f64 v[16:17], v[28:29], v[14:15]
	v_add_f64 v[18:19], v[16:17], 1.0
	v_add_f64 v[24:25], v[16:17], -v[28:29]
	v_cvt_i32_f64_e32 v28, v[20:21]
	v_add_f64 v[26:27], v[18:19], -1.0
	v_add_f64 v[14:15], v[14:15], -v[24:25]
	v_add_f64 v[16:17], v[16:17], -v[26:27]
	v_add_f64 v[14:15], v[14:15], v[16:17]
	v_add_f64 v[16:17], v[18:19], v[14:15]
	v_ldexp_f64 v[20:21], v[16:17], v28
	v_add_f64 v[16:17], v[16:17], -v[18:19]
	v_rcp_f64_e32 v[24:25], v[20:21]
	v_add_f64 v[14:15], v[14:15], -v[16:17]
	v_ldexp_f64 v[14:15], v[14:15], v28
	v_fma_f64 v[26:27], -v[20:21], v[24:25], 1.0
	v_fma_f64 v[24:25], v[26:27], v[24:25], v[24:25]
	v_fma_f64 v[26:27], -v[20:21], v[24:25], 1.0
	v_fma_f64 v[18:19], v[26:27], v[24:25], v[24:25]
	v_mul_f64 v[16:17], v[20:21], v[18:19]
	v_fma_f64 v[24:25], v[18:19], v[20:21], -v[16:17]
	v_fma_f64 v[24:25], v[18:19], v[14:15], v[24:25]
	v_add_f64 v[26:27], v[16:17], v[24:25]
	v_add_f64 v[28:29], -v[26:27], 1.0
	v_add_f64 v[16:17], v[26:27], -v[16:17]
	v_add_f64 v[30:31], -v[28:29], 1.0
	v_add_f64 v[16:17], v[16:17], -v[24:25]
	v_add_f64 v[24:25], v[30:31], -v[26:27]
	v_add_f64 v[16:17], v[16:17], v[24:25]
	v_add_f64 v[24:25], v[28:29], v[16:17]
	v_mul_f64 v[26:27], v[18:19], v[24:25]
	v_add_f64 v[28:29], v[28:29], -v[24:25]
	v_mul_f64 v[30:31], v[20:21], v[26:27]
	v_add_f64 v[16:17], v[16:17], v[28:29]
	v_fma_f64 v[32:33], v[26:27], v[20:21], -v[30:31]
	v_fma_f64 v[32:33], v[26:27], v[14:15], v[32:33]
	v_add_f64 v[34:35], v[30:31], v[32:33]
	v_add_f64 v[36:37], v[24:25], -v[34:35]
	v_add_f64 v[28:29], v[34:35], -v[30:31]
	;; [unrolled: 1-line block ×5, first 2 shown]
	v_add_f64 v[16:17], v[16:17], v[24:25]
	v_add_f64 v[24:25], v[18:19], v[26:27]
	;; [unrolled: 1-line block ×3, first 2 shown]
	v_add_f64 v[28:29], v[24:25], -v[18:19]
	v_add_f64 v[16:17], v[36:37], v[16:17]
	v_add_f64 v[26:27], v[26:27], -v[28:29]
	v_mul_f64 v[16:17], v[18:19], v[16:17]
	v_mul_f64 v[18:19], v[4:5], v[4:5]
	v_add_f64 v[16:17], v[26:27], v[16:17]
	v_mul_f64 v[26:27], v[8:9], v[8:9]
	v_fma_f64 v[28:29], v[18:19], s[12:13], s[8:9]
	v_mul_f64 v[36:37], v[18:19], 0.5
	v_mul_f64 v[50:51], v[4:5], -v[18:19]
	v_add_f64 v[30:31], v[24:25], v[16:17]
	v_fma_f64 v[32:33], v[26:27], s[12:13], s[8:9]
	s_mov_b32 s8, 0x796cde01
	s_mov_b32 s12, 0x9037ab78
	s_mov_b32 s9, 0x3ec71de3
	s_mov_b32 s13, 0x3e21eeb6
	v_fma_f64 v[28:29], v[18:19], v[28:29], s[8:9]
	v_fma_f64 v[34:35], v[18:19], s[14:15], s[12:13]
	;; [unrolled: 1-line block ×3, first 2 shown]
	v_mul_f64 v[42:43], v[26:27], 0.5
	v_add_f64 v[44:45], -v[36:37], 1.0
	v_mul_f64 v[58:59], v[8:9], -v[26:27]
	v_ldexp_f64 v[38:39], v[30:31], -2
	v_fma_f64 v[32:33], v[26:27], v[32:33], s[8:9]
	s_mov_b32 s8, 0x19e83e5c
	s_mov_b32 s9, 0xbf2a01a0
	v_add_f64 v[24:25], v[30:31], -v[24:25]
	v_fma_f64 v[28:29], v[18:19], v[28:29], s[8:9]
	v_fma_f64 v[34:35], v[18:19], v[34:35], s[16:17]
	;; [unrolled: 1-line block ×3, first 2 shown]
	v_add_f64 v[48:49], -v[42:43], 1.0
	v_add_f64 v[52:53], -v[44:45], 1.0
	v_add_f64 v[30:31], v[20:21], -v[38:39]
	v_fma_f64 v[32:33], v[26:27], v[32:33], s[8:9]
	s_mov_b32 s8, 0x19f4ec90
	s_mov_b32 s9, 0x3efa01a0
	v_add_f64 v[16:17], v[16:17], -v[24:25]
	v_add_f64 v[24:25], v[20:21], v[38:39]
	v_fma_f64 v[28:29], v[18:19], v[28:29], s[2:3]
	v_fma_f64 v[34:35], v[18:19], v[34:35], s[8:9]
	;; [unrolled: 1-line block ×3, first 2 shown]
	v_add_f64 v[60:61], -v[48:49], 1.0
	v_add_f64 v[36:37], v[52:53], -v[36:37]
	s_mov_b32 s8, 0x55555555
	s_mov_b32 s9, 0xbfc55555
	;; [unrolled: 1-line block ×3, first 2 shown]
	v_mul_f64 v[52:53], v[18:19], v[18:19]
	v_add_f64 v[54:55], v[20:21], -v[30:31]
	v_fma_f64 v[32:33], v[26:27], v[32:33], s[2:3]
	s_mov_b32 s2, 0x16c16967
	s_mov_b32 s3, 0xbf56c16c
	v_ldexp_f64 v[16:17], v[16:17], -2
	v_add_f64 v[20:21], v[24:25], -v[20:21]
	v_fma_f64 v[28:29], v[50:51], v[28:29], v[46:47]
	v_fma_f64 v[34:35], v[18:19], v[34:35], s[2:3]
	;; [unrolled: 1-line block ×3, first 2 shown]
	v_add_f64 v[42:43], v[60:61], -v[42:43]
	v_fma_f64 v[36:37], v[4:5], -v[6:7], v[36:37]
	v_add_f64 v[46:47], v[54:55], -v[38:39]
	v_fma_f64 v[32:33], v[58:59], v[32:33], v[56:57]
	v_add_f64 v[20:21], v[38:39], -v[20:21]
	v_fma_f64 v[6:7], v[18:19], v[28:29], -v[6:7]
	v_fma_f64 v[34:35], v[18:19], v[34:35], s[0:1]
	v_add_f64 v[18:19], v[14:15], v[16:17]
	v_add_f64 v[14:15], v[14:15], v[46:47]
	v_fma_f64 v[28:29], v[26:27], v[32:33], -v[10:11]
	v_mul_f64 v[32:33], v[26:27], v[26:27]
	v_fma_f64 v[26:27], v[26:27], v[40:41], s[0:1]
	v_fma_f64 v[10:11], v[8:9], -v[10:11], v[42:43]
	s_mov_b32 s0, 0x8fb9f87e
	v_fma_f64 v[6:7], v[50:51], s[8:9], v[6:7]
	v_fma_f64 v[34:35], v[52:53], v[34:35], v[36:37]
	v_add_f64 v[18:19], v[18:19], v[20:21]
	s_mov_b32 s1, 0x408633ce
	v_cmp_ge_f64_e64 s3, |v[2:3]|, s[0:1]
	v_cmp_gt_f64_e64 s0, 0x3e400000, |v[2:3]|
	v_cmp_class_f64_e64 s1, v[0:1], 0x1f8
	v_add_f64 v[14:15], v[14:15], -v[16:17]
	v_fma_f64 v[16:17], v[58:59], s[8:9], v[28:29]
	v_fma_f64 v[10:11], v[32:33], v[26:27], v[10:11]
	v_add_f64 v[4:5], v[4:5], -v[6:7]
	v_add_f64 v[20:21], v[44:45], v[34:35]
	v_add_f64 v[6:7], v[24:25], v[18:19]
	v_add_f64 v[14:15], v[30:31], v[14:15]
	v_add_f64 v[8:9], v[8:9], -v[16:17]
	v_and_b32_e32 v16, 1, v22
	v_and_b32_e32 v17, 1, v23
	v_add_f64 v[10:11], v[48:49], v[10:11]
	v_cmp_eq_u32_e32 vcc_lo, 0, v16
	v_lshlrev_b32_e32 v16, 30, v22
	v_cmp_eq_u32_e64 s2, 0, v17
	v_lshlrev_b32_e32 v17, 30, v23
	v_cndmask_b32_e64 v7, v7, 0x7ff00000, s3
	v_cndmask_b32_e32 v5, v21, v5, vcc_lo
	v_xor_b32_e32 v16, v16, v1
	v_cndmask_b32_e32 v4, v20, v4, vcc_lo
	v_cndmask_b32_e64 v6, v6, 0, s3
	v_and_b32_e32 v16, 0x80000000, v16
	v_cndmask_b32_e64 v4, 0, v4, s1
	v_cndmask_b32_e64 v14, v14, 0, s3
	v_xor_b32_e32 v9, 0x80000000, v9
	v_cndmask_b32_e64 v15, v15, 0x7ff00000, s3
	v_xor_b32_e32 v5, v5, v16
	v_cndmask_b32_e64 v10, v8, v10, s2
	v_cndmask_b32_e64 v8, v9, v11, s2
	v_and_b32_e32 v9, 0x80000000, v17
	v_and_b32_e32 v11, 0x7fffffff, v3
	v_cndmask_b32_e64 v5, 0x7ff80000, v5, s1
	v_cndmask_b32_e64 v10, 0, v10, s1
	v_xor_b32_e32 v9, v8, v9
	v_cndmask_b32_e64 v8, v14, v2, s0
	v_cndmask_b32_e64 v14, v15, v11, s0
	v_mul_f64 v[4:5], v[6:7], v[4:5]
	v_cndmask_b32_e64 v11, 0x7ff80000, v9, s1
	v_bfi_b32 v9, 0x7fffffff, v14, v3
	v_mul_f64 v[6:7], v[8:9], v[10:11]
.LBB1_27:
	s_cbranch_execnz .LBB1_8
.LBB1_28:
	s_waitcnt vmcnt(0)
	v_cmp_lt_f64_e64 s0, |v[0:1]|, |v[2:3]|
	s_cmp_gt_i32 s4, 4
	s_cbranch_scc0 .LBB1_30
; %bb.29:
	v_max_f64 v[4:5], |v[2:3]|, |v[2:3]|
	v_max_f64 v[6:7], |v[0:1]|, |v[0:1]|
	s_mov_b32 s2, 0xbd3237f4
	s_mov_b32 s8, 0xb5e68a13
	;; [unrolled: 1-line block ×4, first 2 shown]
	v_cmp_class_f64_e64 s1, v[2:3], 0x204
	v_max_f64 v[8:9], v[6:7], v[4:5]
	v_min_f64 v[4:5], v[6:7], v[4:5]
	v_div_scale_f64 v[6:7], null, v[8:9], v[8:9], v[4:5]
	v_div_scale_f64 v[16:17], vcc_lo, v[4:5], v[8:9], v[4:5]
	v_rcp_f64_e32 v[10:11], v[6:7]
	v_fma_f64 v[14:15], -v[6:7], v[10:11], 1.0
	v_fma_f64 v[10:11], v[10:11], v[14:15], v[10:11]
	v_fma_f64 v[14:15], -v[6:7], v[10:11], 1.0
	v_fma_f64 v[10:11], v[10:11], v[14:15], v[10:11]
	v_mul_f64 v[14:15], v[16:17], v[10:11]
	v_fma_f64 v[6:7], -v[6:7], v[14:15], v[16:17]
	v_div_fmas_f64 v[6:7], v[6:7], v[10:11], v[14:15]
	v_cmp_gt_i32_e32 vcc_lo, 0, v1
	v_div_fixup_f64 v[4:5], v[6:7], v[8:9], v[4:5]
	v_mul_f64 v[6:7], v[4:5], v[4:5]
	v_fma_f64 v[8:9], v[6:7], s[8:9], s[2:3]
	s_mov_b32 s2, 0x69efb384
	s_mov_b32 s3, 0x3f4b2bb0
	v_fma_f64 v[8:9], v[6:7], v[8:9], s[2:3]
	s_mov_b32 s2, 0xaf56de9b
	s_mov_b32 s3, 0xbf67952d
	;; [unrolled: 3-line block ×19, first 2 shown]
	v_mul_f64 v[6:7], v[6:7], v[8:9]
	v_ashrrev_i32_e32 v9, 31, v1
	v_mov_b32_e32 v8, 0x7f3321d2
	v_and_b32_e32 v10, 0x54442d18, v9
	v_and_b32_e32 v9, 0x400921fb, v9
	v_cndmask_b32_e32 v8, 0x54442d18, v8, vcc_lo
	v_fma_f64 v[4:5], v[4:5], v[6:7], v[4:5]
	v_add_f64 v[6:7], -v[4:5], s[2:3]
	s_mov_b32 s3, 0x400921fb
	v_cndmask_b32_e64 v5, v5, v7, s0
	v_cndmask_b32_e64 v4, v4, v6, s0
	v_cmp_eq_f64_e64 s0, 0, v[2:3]
	v_add_f64 v[6:7], -v[4:5], s[2:3]
	v_cmp_class_f64_e64 s2, v[0:1], 0x204
	v_cndmask_b32_e32 v4, v4, v6, vcc_lo
	v_mov_b32_e32 v6, 0x4002d97c
	v_cndmask_b32_e32 v5, v5, v7, vcc_lo
	v_cndmask_b32_e64 v4, v4, v10, s0
	v_cndmask_b32_e32 v6, 0x3fe921fb, v6, vcc_lo
	v_cndmask_b32_e64 v5, v5, v9, s0
	s_and_b32 vcc_lo, s2, s1
	v_cndmask_b32_e32 v4, v4, v8, vcc_lo
	v_cndmask_b32_e32 v5, v5, v6, vcc_lo
	v_cmp_o_f64_e32 vcc_lo, v[0:1], v[2:3]
	v_cndmask_b32_e32 v5, 0x7ff80000, v5, vcc_lo
	v_cndmask_b32_e32 v4, 0, v4, vcc_lo
	v_bfi_b32 v5, 0x7fffffff, v5, v3
	s_cbranch_execz .LBB1_31
	s_branch .LBB1_34
.LBB1_30:
                                        ; implicit-def: $vgpr4_vgpr5
.LBB1_31:
	v_cmp_lt_f64_e64 vcc_lo, |v[0:1]|, |v[2:3]|
	v_and_b32_e32 v4, 0x7fffffff, v1
	v_and_b32_e32 v5, 0x7fffffff, v3
	s_mov_b32 s1, exec_lo
	v_cndmask_b32_e32 v5, v4, v5, vcc_lo
	v_cndmask_b32_e32 v4, v0, v2, vcc_lo
	v_cmpx_neq_f64_e32 0, v[4:5]
	s_cbranch_execz .LBB1_33
; %bb.32:
	v_div_scale_f64 v[6:7], null, v[4:5], v[4:5], v[0:1]
	v_div_scale_f64 v[8:9], null, v[4:5], v[4:5], v[2:3]
	v_div_scale_f64 v[20:21], vcc_lo, v[0:1], v[4:5], v[0:1]
	v_rcp_f64_e32 v[10:11], v[6:7]
	v_rcp_f64_e32 v[14:15], v[8:9]
	v_fma_f64 v[16:17], -v[6:7], v[10:11], 1.0
	v_fma_f64 v[18:19], -v[8:9], v[14:15], 1.0
	v_fma_f64 v[10:11], v[10:11], v[16:17], v[10:11]
	v_fma_f64 v[14:15], v[14:15], v[18:19], v[14:15]
	v_fma_f64 v[16:17], -v[6:7], v[10:11], 1.0
	v_fma_f64 v[18:19], -v[8:9], v[14:15], 1.0
	v_fma_f64 v[10:11], v[10:11], v[16:17], v[10:11]
	v_div_scale_f64 v[16:17], s0, v[2:3], v[4:5], v[2:3]
	v_fma_f64 v[14:15], v[14:15], v[18:19], v[14:15]
	v_mul_f64 v[18:19], v[20:21], v[10:11]
	v_mul_f64 v[22:23], v[16:17], v[14:15]
	v_fma_f64 v[6:7], -v[6:7], v[18:19], v[20:21]
	v_fma_f64 v[8:9], -v[8:9], v[22:23], v[16:17]
	v_div_fmas_f64 v[6:7], v[6:7], v[10:11], v[18:19]
	s_mov_b32 vcc_lo, s0
	v_div_fmas_f64 v[8:9], v[8:9], v[14:15], v[22:23]
	v_div_fixup_f64 v[6:7], v[6:7], v[4:5], v[0:1]
	v_div_fixup_f64 v[8:9], v[8:9], v[4:5], v[2:3]
	v_mul_f64 v[8:9], v[8:9], v[8:9]
	v_fma_f64 v[6:7], v[6:7], v[6:7], v[8:9]
	v_cmp_gt_f64_e32 vcc_lo, 0x10000000, v[6:7]
	v_cndmask_b32_e64 v8, 0, 0x100, vcc_lo
	v_ldexp_f64 v[6:7], v[6:7], v8
	v_rsq_f64_e32 v[8:9], v[6:7]
	v_mul_f64 v[10:11], v[6:7], v[8:9]
	v_mul_f64 v[8:9], v[8:9], 0.5
	v_fma_f64 v[14:15], -v[8:9], v[10:11], 0.5
	v_fma_f64 v[10:11], v[10:11], v[14:15], v[10:11]
	v_fma_f64 v[8:9], v[8:9], v[14:15], v[8:9]
	v_fma_f64 v[14:15], -v[10:11], v[10:11], v[6:7]
	v_fma_f64 v[10:11], v[14:15], v[8:9], v[10:11]
	v_fma_f64 v[14:15], -v[10:11], v[10:11], v[6:7]
	v_fma_f64 v[8:9], v[14:15], v[8:9], v[10:11]
	v_cndmask_b32_e64 v10, 0, 0xffffff80, vcc_lo
	v_cmp_class_f64_e64 vcc_lo, v[6:7], 0x260
	v_ldexp_f64 v[8:9], v[8:9], v10
	v_cndmask_b32_e32 v7, v9, v7, vcc_lo
	v_cndmask_b32_e32 v6, v8, v6, vcc_lo
	v_mul_f64 v[4:5], v[4:5], v[6:7]
.LBB1_33:
	s_or_b32 exec_lo, exec_lo, s1
.LBB1_34:
	v_mov_b32_e32 v6, 0
	v_mov_b32_e32 v7, 0
	s_cbranch_execnz .LBB1_59
.LBB1_35:
	v_add_co_u32 v4, vcc_lo, s10, v12
	v_add_co_ci_u32_e64 v5, null, s11, v13, vcc_lo
	s_cmp_lt_i32 s4, 2
	global_load_dwordx4 v[8:11], v[4:5], off
	s_cbranch_scc1 .LBB1_53
; %bb.36:
	s_cmp_gt_i32 s4, 2
	s_cbranch_scc0 .LBB1_54
; %bb.37:
	s_waitcnt vmcnt(0)
	v_max_f64 v[4:5], |v[10:11]|, |v[10:11]|
	v_max_f64 v[6:7], |v[8:9]|, |v[8:9]|
	v_max_f64 v[4:5], v[6:7], v[4:5]
	v_frexp_exp_i32_f64_e32 v6, v[4:5]
	v_cmp_lg_f64_e32 vcc_lo, 0x7ff00000, v[4:5]
	v_add_nc_u32_e32 v6, -1, v6
	v_cvt_f64_i32_e32 v[6:7], v6
	v_cndmask_b32_e32 v6, v4, v6, vcc_lo
	v_cndmask_b32_e32 v7, v5, v7, vcc_lo
	v_cmp_neq_f64_e32 vcc_lo, 0, v[4:5]
	v_cndmask_b32_e32 v19, 0xfff00000, v7, vcc_lo
	v_cndmask_b32_e32 v18, 0, v6, vcc_lo
	v_cvt_i32_f64_e32 v38, v[18:19]
	v_cmp_class_f64_e64 s0, v[18:19], 0x1f8
	v_sub_nc_u32_e32 v6, 0, v38
	v_ldexp_f64 v[4:5], v[8:9], v6
	v_ldexp_f64 v[6:7], v[10:11], v6
	v_cndmask_b32_e64 v15, v9, v5, s0
	v_cndmask_b32_e64 v17, v11, v7, s0
	;; [unrolled: 1-line block ×4, first 2 shown]
	v_mul_f64 v[5:6], v[16:17], v[16:17]
	v_mul_f64 v[22:23], v[2:3], v[16:17]
	;; [unrolled: 1-line block ×3, first 2 shown]
	v_fma_f64 v[20:21], v[14:15], v[14:15], v[5:6]
	v_fma_f64 v[4:5], v[0:1], v[14:15], v[22:23]
	v_fma_f64 v[6:7], v[2:3], v[14:15], -v[24:25]
	v_div_scale_f64 v[22:23], null, v[20:21], v[20:21], v[4:5]
	v_div_scale_f64 v[24:25], null, v[20:21], v[20:21], v[6:7]
	v_div_scale_f64 v[34:35], vcc_lo, v[4:5], v[20:21], v[4:5]
	v_rcp_f64_e32 v[26:27], v[22:23]
	v_rcp_f64_e32 v[28:29], v[24:25]
	v_fma_f64 v[30:31], -v[22:23], v[26:27], 1.0
	v_fma_f64 v[32:33], -v[24:25], v[28:29], 1.0
	v_fma_f64 v[26:27], v[26:27], v[30:31], v[26:27]
	v_fma_f64 v[28:29], v[28:29], v[32:33], v[28:29]
	v_fma_f64 v[30:31], -v[22:23], v[26:27], 1.0
	v_fma_f64 v[32:33], -v[24:25], v[28:29], 1.0
	v_fma_f64 v[26:27], v[26:27], v[30:31], v[26:27]
	v_div_scale_f64 v[30:31], s1, v[6:7], v[20:21], v[6:7]
	v_fma_f64 v[28:29], v[28:29], v[32:33], v[28:29]
	v_mul_f64 v[32:33], v[34:35], v[26:27]
	v_mul_f64 v[36:37], v[30:31], v[28:29]
	v_fma_f64 v[22:23], -v[22:23], v[32:33], v[34:35]
	v_fma_f64 v[24:25], -v[24:25], v[36:37], v[30:31]
	v_div_fmas_f64 v[22:23], v[22:23], v[26:27], v[32:33]
	s_mov_b32 vcc_lo, s1
	s_mov_b32 s1, 0
	v_div_fmas_f64 v[24:25], v[24:25], v[28:29], v[36:37]
	v_div_fixup_f64 v[4:5], v[22:23], v[20:21], v[4:5]
	v_cndmask_b32_e64 v22, 0, v38, s0
	v_div_fixup_f64 v[6:7], v[24:25], v[20:21], v[6:7]
	v_sub_nc_u32_e32 v22, 0, v22
	v_ldexp_f64 v[4:5], v[4:5], v22
	v_ldexp_f64 v[6:7], v[6:7], v22
	v_cmp_u_f64_e32 vcc_lo, v[4:5], v[4:5]
	v_cmp_u_f64_e64 s0, v[6:7], v[6:7]
	s_and_b32 s0, vcc_lo, s0
	s_and_saveexec_b32 s2, s0
	s_cbranch_execz .LBB1_51
; %bb.38:
	v_cmp_neq_f64_e64 s3, 0, v[20:21]
	v_cmp_eq_f64_e32 vcc_lo, 0, v[20:21]
                                        ; implicit-def: $vgpr20_vgpr21
                                        ; implicit-def: $vgpr22_vgpr23
	s_and_saveexec_b32 s5, vcc_lo
	s_cbranch_execz .LBB1_42
; %bb.39:
	v_cmp_o_f64_e32 vcc_lo, v[0:1], v[0:1]
	v_cmp_o_f64_e64 s0, v[2:3], v[2:3]
	s_mov_b32 s8, -1
                                        ; implicit-def: $vgpr20_vgpr21
                                        ; implicit-def: $vgpr22_vgpr23
	s_or_b32 s9, vcc_lo, s0
	s_and_saveexec_b32 s0, s9
	s_cbranch_execz .LBB1_41
; %bb.40:
	s_mov_b32 s8, 0x7ff00000
	v_mov_b32_e32 v20, 0
	v_bfi_b32 v21, 0x7fffffff, s8, v15
	s_xor_b32 s8, exec_lo, -1
	v_mul_f64 v[22:23], v[0:1], v[20:21]
	v_mul_f64 v[20:21], v[2:3], v[20:21]
.LBB1_41:
	s_or_b32 exec_lo, exec_lo, s0
	s_andn2_b32 s0, s3, exec_lo
	s_and_b32 s3, s8, exec_lo
	s_or_b32 s3, s0, s3
.LBB1_42:
	s_or_b32 exec_lo, exec_lo, s5
	s_and_saveexec_b32 s0, s3
	s_cbranch_execz .LBB1_50
; %bb.43:
	v_cmp_class_f64_e64 s3, v[0:1], 0x204
	v_cmp_class_f64_e64 s5, v[2:3], 0x204
	v_cmp_nlg_f64_e64 s8, 0x7ff00000, |v[14:15]|
	v_cmp_nlg_f64_e64 s9, 0x7ff00000, |v[16:17]|
	s_nor_b32 s10, s3, s5
	s_or_b32 s8, s10, s8
	s_or_b32 s8, s8, s9
	s_and_saveexec_b32 s9, s8
	s_xor_b32 s8, exec_lo, s9
	s_cbranch_execz .LBB1_47
; %bb.44:
	v_cmp_class_f64_e64 s9, v[0:1], 0x1f8
	v_cmp_class_f64_e64 s10, v[2:3], 0x1f8
	v_cmp_eq_f64_e32 vcc_lo, 0x7ff00000, v[18:19]
	s_and_b32 s9, s9, s10
	s_and_b32 s10, s9, vcc_lo
	s_and_saveexec_b32 s9, s10
	s_cbranch_execz .LBB1_46
; %bb.45:
	v_cmp_class_f64_e64 s10, v[16:17], 0x204
	v_mov_b32_e32 v4, 0
	v_cndmask_b32_e64 v5, 0, 0x3ff00000, s10
	v_cmp_class_f64_e64 s10, v[14:15], 0x204
	v_bfi_b32 v6, 0x7fffffff, v5, v17
	v_mov_b32_e32 v5, v4
	v_mul_f64 v[16:17], v[2:3], v[5:6]
	v_mul_f64 v[6:7], v[0:1], v[5:6]
	v_cndmask_b32_e64 v5, 0, 0x3ff00000, s10
	v_bfi_b32 v5, 0x7fffffff, v5, v15
	v_fma_f64 v[14:15], v[0:1], v[4:5], v[16:17]
	v_fma_f64 v[6:7], v[2:3], v[4:5], -v[6:7]
	v_mul_f64 v[4:5], v[14:15], 0
	v_mul_f64 v[6:7], v[6:7], 0
.LBB1_46:
	s_or_b32 exec_lo, exec_lo, s9
                                        ; implicit-def: $vgpr16_vgpr17
                                        ; implicit-def: $vgpr14_vgpr15
.LBB1_47:
	s_andn2_saveexec_b32 s8, s8
	s_cbranch_execz .LBB1_49
; %bb.48:
	v_cndmask_b32_e64 v5, 0, 0x3ff00000, s5
	v_mov_b32_e32 v4, 0
	v_cndmask_b32_e64 v18, 0, 0x3ff00000, s3
	v_bfi_b32 v7, 0x7fffffff, v5, v3
	v_mov_b32_e32 v6, v4
	v_bfi_b32 v5, 0x7fffffff, v18, v1
	v_mul_f64 v[18:19], v[6:7], v[16:17]
	v_mul_f64 v[16:17], v[4:5], v[16:17]
	v_fma_f64 v[4:5], v[4:5], v[14:15], v[18:19]
	v_fma_f64 v[6:7], v[6:7], v[14:15], -v[16:17]
	v_mul_f64 v[4:5], 0x7ff00000, v[4:5]
	v_mul_f64 v[6:7], 0x7ff00000, v[6:7]
.LBB1_49:
	s_or_b32 exec_lo, exec_lo, s8
	v_mov_b32_e32 v21, v7
	v_mov_b32_e32 v23, v5
	;; [unrolled: 1-line block ×4, first 2 shown]
.LBB1_50:
	s_or_b32 exec_lo, exec_lo, s0
	v_mov_b32_e32 v6, v20
	v_mov_b32_e32 v4, v22
	;; [unrolled: 1-line block ×4, first 2 shown]
.LBB1_51:
	s_or_b32 exec_lo, exec_lo, s2
	s_andn2_b32 vcc_lo, exec_lo, s1
	s_cbranch_vccz .LBB1_55
; %bb.52:
	s_cbranch_execnz .LBB1_59
	s_branch .LBB1_57
.LBB1_53:
                                        ; implicit-def: $vgpr6_vgpr7
	s_branch .LBB1_57
.LBB1_54:
                                        ; implicit-def: $vgpr6_vgpr7
.LBB1_55:
	s_waitcnt vmcnt(0)
	v_mul_f64 v[24:25], v[2:3], v[10:11]
	v_mul_f64 v[22:23], v[0:1], v[10:11]
	s_mov_b32 s3, exec_lo
	v_fma_f64 v[4:5], v[0:1], v[8:9], -v[24:25]
	v_fma_f64 v[6:7], v[2:3], v[8:9], v[22:23]
	v_cmpx_u_f64_e32 v[4:5], v[4:5]
	s_cbranch_execnz .LBB1_64
.LBB1_56:
	s_or_b32 exec_lo, exec_lo, s3
	s_cbranch_execnz .LBB1_59
.LBB1_57:
	s_cmp_gt_i32 s4, 0
	s_mov_b32 s0, 0
	s_cbranch_scc0 .LBB1_60
; %bb.58:
	s_waitcnt vmcnt(0)
	v_add_f64 v[4:5], v[0:1], -v[8:9]
	v_add_f64 v[6:7], v[2:3], -v[10:11]
	s_andn2_b32 vcc_lo, exec_lo, s0
	s_cbranch_vccz .LBB1_61
.LBB1_59:
	s_waitcnt vmcnt(0)
	v_add_co_u32 v0, vcc_lo, s6, v12
	v_add_co_ci_u32_e64 v1, null, s7, v13, vcc_lo
	global_store_dwordx4 v[0:1], v[4:7], off
	s_endpgm
.LBB1_60:
                                        ; implicit-def: $vgpr6_vgpr7
.LBB1_61:
	s_cmp_lg_u32 s4, 0
	s_cbranch_scc1 .LBB1_63
; %bb.62:
	s_waitcnt vmcnt(0)
	v_add_f64 v[0:1], v[0:1], v[8:9]
	v_add_f64 v[2:3], v[2:3], v[10:11]
.LBB1_63:
	s_waitcnt vmcnt(1)
	v_mov_b32_e32 v7, v3
	v_mov_b32_e32 v5, v1
	v_mov_b32_e32 v6, v2
	v_mov_b32_e32 v4, v0
	v_add_co_u32 v0, vcc_lo, s6, v12
	v_add_co_ci_u32_e64 v1, null, s7, v13, vcc_lo
	global_store_dwordx4 v[0:1], v[4:7], off
	s_endpgm
.LBB1_64:
	s_mov_b32 s5, exec_lo
	v_cmpx_u_f64_e32 v[6:7], v[6:7]
	s_cbranch_execnz .LBB1_66
.LBB1_65:
	s_or_b32 exec_lo, exec_lo, s5
	s_branch .LBB1_56
.LBB1_66:
	v_cmp_class_f64_e64 s2, v[0:1], 0x204
	v_cmp_class_f64_e64 s0, v[2:3], 0x204
	v_mov_b32_e32 v21, v11
	v_mov_b32_e32 v19, v9
	;; [unrolled: 1-line block ×9, first 2 shown]
	s_or_b32 s8, s2, s0
	s_and_saveexec_b32 s1, s8
	s_cbranch_execz .LBB1_70
; %bb.67:
	v_cndmask_b32_e64 v14, 0, 1, s2
	v_cndmask_b32_e64 v15, 0, 1, s0
	v_cmp_u_f64_e32 vcc_lo, v[8:9], v[8:9]
	v_and_b32_e32 v19, 0x80000000, v9
	v_mov_b32_e32 v21, v11
	v_cvt_f64_u32_e32 v[16:17], v14
	v_cvt_f64_u32_e32 v[14:15], v15
	v_mov_b32_e32 v20, v10
	s_mov_b32 s2, exec_lo
	v_cndmask_b32_e64 v18, v8, 0, vcc_lo
	v_cndmask_b32_e32 v19, v9, v19, vcc_lo
	v_bfi_b32 v17, 0x7fffffff, v17, v1
	v_bfi_b32 v15, 0x7fffffff, v15, v3
	v_cmpx_u_f64_e32 v[10:11], v[10:11]
; %bb.68:
	v_bfi_b32 v21, 0x7fffffff, 0, v11
	v_mov_b32_e32 v20, 0
; %bb.69:
	s_or_b32 exec_lo, exec_lo, s2
	v_mov_b32_e32 v30, 1
.LBB1_70:
	s_or_b32 exec_lo, exec_lo, s1
	v_cmp_class_f64_e64 s2, v[18:19], 0x204
	v_cmp_class_f64_e64 s0, v[20:21], 0x204
	s_or_b32 s8, s0, s2
	s_and_saveexec_b32 s1, s8
	s_cbranch_execz .LBB1_74
; %bb.71:
	v_cndmask_b32_e64 v18, 0, 1, s2
	v_cndmask_b32_e64 v20, 0, 1, s0
	v_cmp_u_f64_e32 vcc_lo, v[16:17], v[16:17]
	s_mov_b32 s2, exec_lo
	v_cvt_f64_u32_e32 v[26:27], v18
	v_cvt_f64_u32_e32 v[28:29], v20
	v_and_b32_e32 v18, 0x80000000, v17
	v_cndmask_b32_e64 v16, v16, 0, vcc_lo
	v_cndmask_b32_e32 v17, v17, v18, vcc_lo
	v_bfi_b32 v27, 0x7fffffff, v27, v19
	v_bfi_b32 v29, 0x7fffffff, v29, v21
	v_cmpx_u_f64_e32 v[14:15], v[14:15]
; %bb.72:
	v_bfi_b32 v15, 0x7fffffff, 0, v15
	v_mov_b32_e32 v14, 0
; %bb.73:
	s_or_b32 exec_lo, exec_lo, s2
	v_mov_b32_e32 v20, v28
	v_mov_b32_e32 v18, v26
	;; [unrolled: 1-line block ×5, first 2 shown]
.LBB1_74:
	s_or_b32 exec_lo, exec_lo, s1
	s_mov_b32 s0, 0
	s_mov_b32 s1, -1
	s_mov_b32 s8, exec_lo
	v_cmpx_eq_u32_e32 0, v30
	s_cbranch_execz .LBB1_80
; %bb.75:
	v_mul_f64 v[26:27], v[0:1], v[8:9]
	v_mul_f64 v[28:29], v[2:3], v[8:9]
	v_cmp_class_f64_e64 s2, v[24:25], 0x204
	v_cmp_class_f64_e64 s9, v[22:23], 0x204
	;; [unrolled: 1-line block ×4, first 2 shown]
	s_or_b32 s1, s1, s2
	s_or_b32 s1, s9, s1
	;; [unrolled: 1-line block ×3, first 2 shown]
	s_and_saveexec_b32 s9, s1
	s_cbranch_execz .LBB1_79
; %bb.76:
	v_cmp_u_f64_e32 vcc_lo, v[16:17], v[16:17]
	v_cmp_u_f64_e64 s0, v[14:15], v[14:15]
	v_cmp_u_f64_e64 s1, v[18:19], v[18:19]
	v_and_b32_e32 v22, 0x80000000, v17
	v_and_b32_e32 v23, 0x80000000, v15
	;; [unrolled: 1-line block ×3, first 2 shown]
	v_cndmask_b32_e64 v16, v16, 0, vcc_lo
	v_cndmask_b32_e64 v14, v14, 0, s0
	v_cndmask_b32_e64 v18, v18, 0, s1
	v_cndmask_b32_e32 v17, v17, v22, vcc_lo
	v_cndmask_b32_e64 v15, v15, v23, s0
	v_cndmask_b32_e64 v19, v19, v24, s1
	s_mov_b32 s0, exec_lo
	v_cmpx_u_f64_e32 v[20:21], v[20:21]
; %bb.77:
	v_bfi_b32 v21, 0x7fffffff, 0, v21
	v_mov_b32_e32 v20, 0
; %bb.78:
	s_or_b32 exec_lo, exec_lo, s0
	s_mov_b32 s0, exec_lo
.LBB1_79:
	s_or_b32 exec_lo, exec_lo, s9
	s_orn2_b32 s1, s0, exec_lo
.LBB1_80:
	s_or_b32 exec_lo, exec_lo, s8
	s_and_saveexec_b32 s0, s1
	s_cbranch_execz .LBB1_82
; %bb.81:
	v_mul_f64 v[4:5], v[20:21], v[14:15]
	v_mul_f64 v[6:7], v[20:21], v[16:17]
	v_fma_f64 v[4:5], v[18:19], v[16:17], -v[4:5]
	v_fma_f64 v[6:7], v[18:19], v[14:15], v[6:7]
	v_mul_f64 v[4:5], 0x7ff00000, v[4:5]
	v_mul_f64 v[6:7], 0x7ff00000, v[6:7]
.LBB1_82:
	s_or_b32 exec_lo, exec_lo, s0
	s_branch .LBB1_65
	.section	.rodata,"a",@progbits
	.p2align	6, 0x0
	.amdhsa_kernel _Z6kernelIdEvPSt7complexIT_ES3_S3_8CalcKind
		.amdhsa_group_segment_fixed_size 0
		.amdhsa_private_segment_fixed_size 0
		.amdhsa_kernarg_size 288
		.amdhsa_user_sgpr_count 6
		.amdhsa_user_sgpr_private_segment_buffer 1
		.amdhsa_user_sgpr_dispatch_ptr 0
		.amdhsa_user_sgpr_queue_ptr 0
		.amdhsa_user_sgpr_kernarg_segment_ptr 1
		.amdhsa_user_sgpr_dispatch_id 0
		.amdhsa_user_sgpr_flat_scratch_init 0
		.amdhsa_user_sgpr_private_segment_size 0
		.amdhsa_wavefront_size32 1
		.amdhsa_uses_dynamic_stack 0
		.amdhsa_system_sgpr_private_segment_wavefront_offset 0
		.amdhsa_system_sgpr_workgroup_id_x 1
		.amdhsa_system_sgpr_workgroup_id_y 0
		.amdhsa_system_sgpr_workgroup_id_z 0
		.amdhsa_system_sgpr_workgroup_info 0
		.amdhsa_system_vgpr_workitem_id 0
		.amdhsa_next_free_vgpr 62
		.amdhsa_next_free_sgpr 20
		.amdhsa_reserve_vcc 1
		.amdhsa_reserve_flat_scratch 0
		.amdhsa_float_round_mode_32 0
		.amdhsa_float_round_mode_16_64 0
		.amdhsa_float_denorm_mode_32 3
		.amdhsa_float_denorm_mode_16_64 3
		.amdhsa_dx10_clamp 1
		.amdhsa_ieee_mode 1
		.amdhsa_fp16_overflow 0
		.amdhsa_workgroup_processor_mode 1
		.amdhsa_memory_ordered 1
		.amdhsa_forward_progress 1
		.amdhsa_shared_vgpr_count 0
		.amdhsa_exception_fp_ieee_invalid_op 0
		.amdhsa_exception_fp_denorm_src 0
		.amdhsa_exception_fp_ieee_div_zero 0
		.amdhsa_exception_fp_ieee_overflow 0
		.amdhsa_exception_fp_ieee_underflow 0
		.amdhsa_exception_fp_ieee_inexact 0
		.amdhsa_exception_int_div_zero 0
	.end_amdhsa_kernel
	.section	.text._Z6kernelIdEvPSt7complexIT_ES3_S3_8CalcKind,"axG",@progbits,_Z6kernelIdEvPSt7complexIT_ES3_S3_8CalcKind,comdat
.Lfunc_end1:
	.size	_Z6kernelIdEvPSt7complexIT_ES3_S3_8CalcKind, .Lfunc_end1-_Z6kernelIdEvPSt7complexIT_ES3_S3_8CalcKind
                                        ; -- End function
	.set _Z6kernelIdEvPSt7complexIT_ES3_S3_8CalcKind.num_vgpr, 62
	.set _Z6kernelIdEvPSt7complexIT_ES3_S3_8CalcKind.num_agpr, 0
	.set _Z6kernelIdEvPSt7complexIT_ES3_S3_8CalcKind.numbered_sgpr, 20
	.set _Z6kernelIdEvPSt7complexIT_ES3_S3_8CalcKind.num_named_barrier, 0
	.set _Z6kernelIdEvPSt7complexIT_ES3_S3_8CalcKind.private_seg_size, 0
	.set _Z6kernelIdEvPSt7complexIT_ES3_S3_8CalcKind.uses_vcc, 1
	.set _Z6kernelIdEvPSt7complexIT_ES3_S3_8CalcKind.uses_flat_scratch, 0
	.set _Z6kernelIdEvPSt7complexIT_ES3_S3_8CalcKind.has_dyn_sized_stack, 0
	.set _Z6kernelIdEvPSt7complexIT_ES3_S3_8CalcKind.has_recursion, 0
	.set _Z6kernelIdEvPSt7complexIT_ES3_S3_8CalcKind.has_indirect_call, 0
	.section	.AMDGPU.csdata,"",@progbits
; Kernel info:
; codeLenInByte = 10828
; TotalNumSgprs: 22
; NumVgprs: 62
; ScratchSize: 0
; MemoryBound: 0
; FloatMode: 240
; IeeeMode: 1
; LDSByteSize: 0 bytes/workgroup (compile time only)
; SGPRBlocks: 0
; VGPRBlocks: 7
; NumSGPRsForWavesPerEU: 22
; NumVGPRsForWavesPerEU: 62
; Occupancy: 16
; WaveLimiterHint : 0
; COMPUTE_PGM_RSRC2:SCRATCH_EN: 0
; COMPUTE_PGM_RSRC2:USER_SGPR: 6
; COMPUTE_PGM_RSRC2:TRAP_HANDLER: 0
; COMPUTE_PGM_RSRC2:TGID_X_EN: 1
; COMPUTE_PGM_RSRC2:TGID_Y_EN: 0
; COMPUTE_PGM_RSRC2:TGID_Z_EN: 0
; COMPUTE_PGM_RSRC2:TIDIG_COMP_CNT: 0
	.section	.AMDGPU.gpr_maximums,"",@progbits
	.set amdgpu.max_num_vgpr, 0
	.set amdgpu.max_num_agpr, 0
	.set amdgpu.max_num_sgpr, 0
	.section	.AMDGPU.csdata,"",@progbits
	.type	__hip_cuid_dc84641f825f0f57,@object ; @__hip_cuid_dc84641f825f0f57
	.section	.bss,"aw",@nobits
	.globl	__hip_cuid_dc84641f825f0f57
__hip_cuid_dc84641f825f0f57:
	.byte	0                               ; 0x0
	.size	__hip_cuid_dc84641f825f0f57, 1

	.ident	"AMD clang version 22.0.0git (https://github.com/RadeonOpenCompute/llvm-project roc-7.2.4 26084 f58b06dce1f9c15707c5f808fd002e18c2accf7e)"
	.section	".note.GNU-stack","",@progbits
	.addrsig
	.addrsig_sym __hip_cuid_dc84641f825f0f57
	.amdgpu_metadata
---
amdhsa.kernels:
  - .args:
      - .address_space:  global
        .offset:         0
        .size:           8
        .value_kind:     global_buffer
      - .address_space:  global
        .offset:         8
        .size:           8
        .value_kind:     global_buffer
      - .address_space:  global
        .offset:         16
        .size:           8
        .value_kind:     global_buffer
      - .offset:         24
        .size:           4
        .value_kind:     by_value
      - .offset:         32
        .size:           4
        .value_kind:     hidden_block_count_x
      - .offset:         36
        .size:           4
        .value_kind:     hidden_block_count_y
      - .offset:         40
        .size:           4
        .value_kind:     hidden_block_count_z
      - .offset:         44
        .size:           2
        .value_kind:     hidden_group_size_x
      - .offset:         46
        .size:           2
        .value_kind:     hidden_group_size_y
      - .offset:         48
        .size:           2
        .value_kind:     hidden_group_size_z
      - .offset:         50
        .size:           2
        .value_kind:     hidden_remainder_x
      - .offset:         52
        .size:           2
        .value_kind:     hidden_remainder_y
      - .offset:         54
        .size:           2
        .value_kind:     hidden_remainder_z
      - .offset:         72
        .size:           8
        .value_kind:     hidden_global_offset_x
      - .offset:         80
        .size:           8
        .value_kind:     hidden_global_offset_y
      - .offset:         88
        .size:           8
        .value_kind:     hidden_global_offset_z
      - .offset:         96
        .size:           2
        .value_kind:     hidden_grid_dims
    .group_segment_fixed_size: 0
    .kernarg_segment_align: 8
    .kernarg_segment_size: 288
    .language:       OpenCL C
    .language_version:
      - 2
      - 0
    .max_flat_workgroup_size: 1024
    .name:           _Z6kernelIfEvPSt7complexIT_ES3_S3_8CalcKind
    .private_segment_fixed_size: 0
    .sgpr_count:     13
    .sgpr_spill_count: 0
    .symbol:         _Z6kernelIfEvPSt7complexIT_ES3_S3_8CalcKind.kd
    .uniform_work_group_size: 1
    .uses_dynamic_stack: false
    .vgpr_count:     25
    .vgpr_spill_count: 0
    .wavefront_size: 32
    .workgroup_processor_mode: 1
  - .args:
      - .address_space:  global
        .offset:         0
        .size:           8
        .value_kind:     global_buffer
      - .address_space:  global
        .offset:         8
        .size:           8
        .value_kind:     global_buffer
      - .address_space:  global
        .offset:         16
        .size:           8
        .value_kind:     global_buffer
      - .offset:         24
        .size:           4
        .value_kind:     by_value
      - .offset:         32
        .size:           4
        .value_kind:     hidden_block_count_x
      - .offset:         36
        .size:           4
        .value_kind:     hidden_block_count_y
      - .offset:         40
        .size:           4
        .value_kind:     hidden_block_count_z
      - .offset:         44
        .size:           2
        .value_kind:     hidden_group_size_x
      - .offset:         46
        .size:           2
        .value_kind:     hidden_group_size_y
      - .offset:         48
        .size:           2
        .value_kind:     hidden_group_size_z
      - .offset:         50
        .size:           2
        .value_kind:     hidden_remainder_x
      - .offset:         52
        .size:           2
        .value_kind:     hidden_remainder_y
      - .offset:         54
        .size:           2
        .value_kind:     hidden_remainder_z
      - .offset:         72
        .size:           8
        .value_kind:     hidden_global_offset_x
      - .offset:         80
        .size:           8
        .value_kind:     hidden_global_offset_y
      - .offset:         88
        .size:           8
        .value_kind:     hidden_global_offset_z
      - .offset:         96
        .size:           2
        .value_kind:     hidden_grid_dims
    .group_segment_fixed_size: 0
    .kernarg_segment_align: 8
    .kernarg_segment_size: 288
    .language:       OpenCL C
    .language_version:
      - 2
      - 0
    .max_flat_workgroup_size: 1024
    .name:           _Z6kernelIdEvPSt7complexIT_ES3_S3_8CalcKind
    .private_segment_fixed_size: 0
    .sgpr_count:     22
    .sgpr_spill_count: 0
    .symbol:         _Z6kernelIdEvPSt7complexIT_ES3_S3_8CalcKind.kd
    .uniform_work_group_size: 1
    .uses_dynamic_stack: false
    .vgpr_count:     62
    .vgpr_spill_count: 0
    .wavefront_size: 32
    .workgroup_processor_mode: 1
amdhsa.target:   amdgcn-amd-amdhsa--gfx1030
amdhsa.version:
  - 1
  - 2
...

	.end_amdgpu_metadata
